;; amdgpu-corpus repo=zjin-lcf/HeCBench kind=compiled arch=gfx90a opt=O3
	.text
	.amdgcn_target "amdgcn-amd-amdhsa--gfx90a"
	.amdhsa_code_object_version 6
	.section	.text._Z13relextrema_1DIiEviibPKT_Pb,"axG",@progbits,_Z13relextrema_1DIiEviibPKT_Pb,comdat
	.protected	_Z13relextrema_1DIiEviibPKT_Pb ; -- Begin function _Z13relextrema_1DIiEviibPKT_Pb
	.globl	_Z13relextrema_1DIiEviibPKT_Pb
	.p2align	8
	.type	_Z13relextrema_1DIiEviibPKT_Pb,@function
_Z13relextrema_1DIiEviibPKT_Pb:         ; @_Z13relextrema_1DIiEviibPKT_Pb
; %bb.0:
	s_load_dword s2, s[4:5], 0x2c
	s_load_dwordx4 s[12:15], s[4:5], 0x0
	s_add_u32 s0, s4, 32
	s_addc_u32 s1, s5, 0
	s_waitcnt lgkmcnt(0)
	s_and_b32 s3, s2, 0xffff
	s_mul_i32 s2, s6, s3
	v_add_u32_e32 v6, s2, v0
	v_cmp_gt_i32_e32 vcc, s12, v6
	s_and_saveexec_b64 s[6:7], vcc
	s_cbranch_execz .LBB0_11
; %bb.1:
	s_bitcmp1_b32 s14, 0
	s_load_dword s31, s[0:1], 0x0
	s_load_dwordx4 s[16:19], s[4:5], 0x10
	s_cselect_b64 s[0:1], -1, 0
	s_cmp_gt_i32 s13, 0
	s_cselect_b64 s[4:5], -1, 0
	s_add_i32 s33, s12, -1
	s_cmp_lg_u32 s13, 1
	s_cselect_b64 s[10:11], -1, 0
	s_and_b32 s34, s13, 0x7ffffffe
	s_or_b32 s35, s13, 1
	s_cmp_lg_u32 s34, s13
	s_cselect_b64 s[14:15], -1, 0
	s_add_i32 s2, s2, s12
	v_add_u32_e32 v7, s2, v0
	v_cndmask_b32_e64 v0, 0, 1, s[4:5]
	s_mov_b32 s30, 0
	s_waitcnt lgkmcnt(0)
	s_mul_i32 s31, s31, s3
	s_mov_b32 s36, s12
	s_mov_b32 s37, s12
	s_add_i32 s13, s13, 1
	v_subrev_u32_e32 v8, s12, v6
	s_mov_b64 s[20:21], 0
	v_cmp_ne_u32_e64 s[2:3], 1, v0
	v_mov_b32_e32 v9, s33
	v_mov_b32_e32 v10, s33
	;; [unrolled: 1-line block ×4, first 2 shown]
                                        ; implicit-def: $sgpr6_sgpr7
	s_branch .LBB0_3
.LBB0_2:                                ;   in Loop: Header=BB0_3 Depth=1
	v_mov_b32_e32 v3, s19
	s_waitcnt vmcnt(0)
	v_add_co_u32_e32 v2, vcc, s18, v0
	v_addc_co_u32_e32 v3, vcc, v3, v1, vcc
	v_add_u32_e32 v0, s31, v0
	s_add_i32 s30, s30, s31
	v_cmp_le_i32_e32 vcc, s12, v0
	v_cndmask_b32_e64 v1, 0, 1, s[6:7]
	s_or_b64 s[20:21], vcc, s[20:21]
	global_store_byte v[2:3], v1, off
	s_andn2_b64 exec, exec, s[20:21]
	s_cbranch_execz .LBB0_11
.LBB0_3:                                ; =>This Loop Header: Depth=1
                                        ;     Child Loop BB0_6 Depth 2
                                        ;     Child Loop BB0_10 Depth 2
	v_ashrrev_i32_e32 v1, 31, v0
	s_and_b64 vcc, exec, s[2:3]
	s_or_b64 s[6:7], s[6:7], exec
	s_cbranch_vccnz .LBB0_2
; %bb.4:                                ;   in Loop: Header=BB0_3 Depth=1
	v_lshlrev_b64 v[2:3], 2, v[0:1]
	v_mov_b32_e32 v4, s17
	v_add_co_u32_e32 v2, vcc, s16, v2
	v_addc_co_u32_e32 v3, vcc, v4, v3, vcc
	global_load_dword v2, v[2:3], off
	s_and_b64 vcc, exec, s[10:11]
	s_cbranch_vccz .LBB0_8
; %bb.5:                                ;   in Loop: Header=BB0_3 Depth=1
	v_mov_b32_e32 v4, v0
	v_mov_b32_e32 v3, v0
	s_waitcnt vmcnt(0)
	v_mov_b32_e32 v5, v2
	s_mov_b64 s[22:23], -1
	s_mov_b64 s[24:25], -1
	s_mov_b32 s38, 2
	s_mov_b32 s39, 1
	;; [unrolled: 1-line block ×3, first 2 shown]
                                        ; implicit-def: $sgpr26_sgpr27
                                        ; implicit-def: $sgpr28_sgpr29
.LBB0_6:                                ;   Parent Loop BB0_3 Depth=1
                                        ; =>  This Inner Loop Header: Depth=2
	v_add_u32_e32 v12, s39, v4
	v_add_u32_e32 v13, s38, v3
	v_subrev_u32_e32 v14, s36, v12
	v_subrev_u32_e32 v16, s37, v13
	v_cndmask_b32_e64 v14, v14, v10, s[0:1]
	v_cmp_gt_i32_e64 s[8:9], s36, v12
	v_subrev_u32_e32 v15, s39, v4
	v_cndmask_b32_e64 v16, v16, v9, s[0:1]
	v_cmp_gt_i32_e32 vcc, s37, v13
	v_cndmask_b32_e64 v12, v14, v12, s[8:9]
	v_add_u32_e32 v18, s36, v15
	v_cndmask_b32_e32 v14, v16, v13, vcc
	v_ashrrev_i32_e32 v13, 31, v12
	v_subrev_u32_e32 v17, s38, v3
	v_cndmask_b32_e64 v18, v18, 0, s[0:1]
	v_cmp_gt_i32_e64 s[6:7], 0, v15
	v_lshlrev_b64 v[12:13], 2, v[12:13]
	v_add_u32_e32 v19, s37, v17
	v_cndmask_b32_e64 v16, v15, v18, s[6:7]
	v_ashrrev_i32_e32 v15, 31, v14
	v_add_co_u32_e32 v12, vcc, s16, v12
	v_cndmask_b32_e64 v19, v19, 0, s[0:1]
	v_cmp_gt_i32_e64 s[4:5], 0, v17
	v_lshlrev_b64 v[14:15], 2, v[14:15]
	v_addc_co_u32_e32 v13, vcc, v11, v13, vcc
	v_cndmask_b32_e64 v18, v17, v19, s[4:5]
	v_ashrrev_i32_e32 v17, 31, v16
	v_add_co_u32_e32 v14, vcc, s16, v14
	v_lshlrev_b64 v[16:17], 2, v[16:17]
	v_addc_co_u32_e32 v15, vcc, v11, v15, vcc
	v_ashrrev_i32_e32 v19, 31, v18
	v_add_co_u32_e32 v16, vcc, s16, v16
	v_lshlrev_b64 v[18:19], 2, v[18:19]
	v_addc_co_u32_e32 v17, vcc, v11, v17, vcc
	v_add_co_u32_e32 v18, vcc, s16, v18
	v_addc_co_u32_e32 v19, vcc, v11, v19, vcc
	global_load_dword v20, v[14:15], off
	global_load_dword v21, v[12:13], off
	;; [unrolled: 1-line block ×4, first 2 shown]
	s_andn2_b64 s[28:29], s[28:29], exec
	s_andn2_b64 s[26:27], s[26:27], exec
	s_add_i32 s39, s39, 2
	s_add_i32 s38, s38, 2
	s_add_i32 s40, s40, -2
	s_waitcnt vmcnt(3)
	v_cmp_gt_i32_e32 vcc, v5, v20
	s_waitcnt vmcnt(2)
	v_cmp_gt_i32_e64 s[4:5], v2, v21
	s_waitcnt vmcnt(1)
	v_cmp_ge_i32_e64 s[6:7], v5, v22
	s_waitcnt vmcnt(0)
	v_cmp_ge_i32_e64 s[8:9], v2, v23
	s_and_b64 s[4:5], s[4:5], s[8:9]
	s_and_b64 s[6:7], vcc, s[6:7]
	s_and_b64 s[22:23], s[22:23], s[6:7]
	s_and_b64 s[24:25], s[24:25], s[4:5]
	s_and_b64 s[4:5], s[24:25], exec
	s_and_b64 s[6:7], s[22:23], exec
	s_or_b64 s[28:29], s[28:29], s[4:5]
	s_or_b64 s[26:27], s[26:27], s[6:7]
	s_cmp_lg_u32 s40, 0
	s_cbranch_scc1 .LBB0_6
; %bb.7:                                ;   in Loop: Header=BB0_3 Depth=1
	v_cndmask_b32_e64 v3, 0, 1, s[26:27]
	v_lshlrev_b16_e32 v3, 1, v3
	v_cndmask_b32_e64 v4, 0, 1, s[28:29]
	v_or_b32_e32 v3, v4, v3
	v_and_b32_e32 v3, 3, v3
	v_cmp_eq_u16_e64 s[8:9], 3, v3
	s_mov_b64 s[6:7], s[8:9]
	s_mov_b32 s23, s35
	s_mov_b64 s[4:5], s[14:15]
	s_and_b64 vcc, exec, s[4:5]
	s_cbranch_vccz .LBB0_2
	s_branch .LBB0_9
.LBB0_8:                                ;   in Loop: Header=BB0_3 Depth=1
	s_mov_b32 s23, 1
	s_mov_b64 s[8:9], -1
                                        ; implicit-def: $sgpr6_sgpr7
	s_cbranch_execz .LBB0_2
.LBB0_9:                                ;   in Loop: Header=BB0_3 Depth=1
	s_sub_i32 s22, s13, s23
	v_subrev_u32_e32 v3, s23, v6
	v_subrev_u32_e32 v4, s23, v7
	v_add_u32_e32 v5, s23, v6
	v_add_u32_e32 v12, s23, v8
                                        ; implicit-def: $sgpr6_sgpr7
.LBB0_10:                               ;   Parent Loop BB0_3 Depth=1
                                        ; =>  This Inner Loop Header: Depth=2
	v_add_u32_e32 v13, s30, v5
	v_add_u32_e32 v14, s30, v12
	v_mov_b32_e32 v16, s33
	v_add_u32_e32 v15, s30, v3
	v_add_u32_e32 v17, s30, v4
	v_cndmask_b32_e64 v14, v14, v16, s[0:1]
	v_cmp_gt_i32_e64 s[4:5], s12, v13
	v_cndmask_b32_e64 v16, v17, 0, s[0:1]
	v_cmp_gt_i32_e32 vcc, 0, v15
	v_cndmask_b32_e64 v14, v14, v13, s[4:5]
	v_cndmask_b32_e32 v16, v15, v16, vcc
	v_ashrrev_i32_e32 v15, 31, v14
	v_lshlrev_b64 v[14:15], 2, v[14:15]
	v_ashrrev_i32_e32 v17, 31, v16
	v_add_co_u32_e32 v14, vcc, s16, v14
	v_lshlrev_b64 v[16:17], 2, v[16:17]
	v_addc_co_u32_e32 v15, vcc, v11, v15, vcc
	v_add_co_u32_e32 v16, vcc, s16, v16
	v_addc_co_u32_e32 v17, vcc, v11, v17, vcc
	global_load_dword v13, v[14:15], off
	global_load_dword v18, v[16:17], off
	s_andn2_b64 s[6:7], s[6:7], exec
	s_add_i32 s22, s22, -1
	v_add_u32_e32 v3, -1, v3
	v_add_u32_e32 v4, -1, v4
	v_add_u32_e32 v5, 1, v5
	v_add_u32_e32 v12, 1, v12
	s_waitcnt vmcnt(1)
	v_cmp_gt_i32_e32 vcc, v2, v13
	s_waitcnt vmcnt(0)
	v_cmp_ge_i32_e64 s[4:5], v2, v18
	s_and_b64 s[4:5], vcc, s[4:5]
	s_and_b64 s[8:9], s[8:9], s[4:5]
	s_and_b64 s[4:5], s[8:9], exec
	s_or_b64 s[6:7], s[6:7], s[4:5]
	s_cmp_eq_u32 s22, 0
	s_cbranch_scc0 .LBB0_10
	s_branch .LBB0_2
.LBB0_11:
	s_endpgm
	.section	.rodata,"a",@progbits
	.p2align	6, 0x0
	.amdhsa_kernel _Z13relextrema_1DIiEviibPKT_Pb
		.amdhsa_group_segment_fixed_size 0
		.amdhsa_private_segment_fixed_size 0
		.amdhsa_kernarg_size 288
		.amdhsa_user_sgpr_count 6
		.amdhsa_user_sgpr_private_segment_buffer 1
		.amdhsa_user_sgpr_dispatch_ptr 0
		.amdhsa_user_sgpr_queue_ptr 0
		.amdhsa_user_sgpr_kernarg_segment_ptr 1
		.amdhsa_user_sgpr_dispatch_id 0
		.amdhsa_user_sgpr_flat_scratch_init 0
		.amdhsa_user_sgpr_kernarg_preload_length 0
		.amdhsa_user_sgpr_kernarg_preload_offset 0
		.amdhsa_user_sgpr_private_segment_size 0
		.amdhsa_uses_dynamic_stack 0
		.amdhsa_system_sgpr_private_segment_wavefront_offset 0
		.amdhsa_system_sgpr_workgroup_id_x 1
		.amdhsa_system_sgpr_workgroup_id_y 0
		.amdhsa_system_sgpr_workgroup_id_z 0
		.amdhsa_system_sgpr_workgroup_info 0
		.amdhsa_system_vgpr_workitem_id 0
		.amdhsa_next_free_vgpr 24
		.amdhsa_next_free_sgpr 41
		.amdhsa_accum_offset 24
		.amdhsa_reserve_vcc 1
		.amdhsa_reserve_flat_scratch 0
		.amdhsa_float_round_mode_32 0
		.amdhsa_float_round_mode_16_64 0
		.amdhsa_float_denorm_mode_32 3
		.amdhsa_float_denorm_mode_16_64 3
		.amdhsa_dx10_clamp 1
		.amdhsa_ieee_mode 1
		.amdhsa_fp16_overflow 0
		.amdhsa_tg_split 0
		.amdhsa_exception_fp_ieee_invalid_op 0
		.amdhsa_exception_fp_denorm_src 0
		.amdhsa_exception_fp_ieee_div_zero 0
		.amdhsa_exception_fp_ieee_overflow 0
		.amdhsa_exception_fp_ieee_underflow 0
		.amdhsa_exception_fp_ieee_inexact 0
		.amdhsa_exception_int_div_zero 0
	.end_amdhsa_kernel
	.section	.text._Z13relextrema_1DIiEviibPKT_Pb,"axG",@progbits,_Z13relextrema_1DIiEviibPKT_Pb,comdat
.Lfunc_end0:
	.size	_Z13relextrema_1DIiEviibPKT_Pb, .Lfunc_end0-_Z13relextrema_1DIiEviibPKT_Pb
                                        ; -- End function
	.section	.AMDGPU.csdata,"",@progbits
; Kernel info:
; codeLenInByte = 960
; NumSgprs: 45
; NumVgprs: 24
; NumAgprs: 0
; TotalNumVgprs: 24
; ScratchSize: 0
; MemoryBound: 0
; FloatMode: 240
; IeeeMode: 1
; LDSByteSize: 0 bytes/workgroup (compile time only)
; SGPRBlocks: 5
; VGPRBlocks: 2
; NumSGPRsForWavesPerEU: 45
; NumVGPRsForWavesPerEU: 24
; AccumOffset: 24
; Occupancy: 8
; WaveLimiterHint : 0
; COMPUTE_PGM_RSRC2:SCRATCH_EN: 0
; COMPUTE_PGM_RSRC2:USER_SGPR: 6
; COMPUTE_PGM_RSRC2:TRAP_HANDLER: 0
; COMPUTE_PGM_RSRC2:TGID_X_EN: 1
; COMPUTE_PGM_RSRC2:TGID_Y_EN: 0
; COMPUTE_PGM_RSRC2:TGID_Z_EN: 0
; COMPUTE_PGM_RSRC2:TIDIG_COMP_CNT: 0
; COMPUTE_PGM_RSRC3_GFX90A:ACCUM_OFFSET: 5
; COMPUTE_PGM_RSRC3_GFX90A:TG_SPLIT: 0
	.section	.text._Z13relextrema_1DIlEviibPKT_Pb,"axG",@progbits,_Z13relextrema_1DIlEviibPKT_Pb,comdat
	.protected	_Z13relextrema_1DIlEviibPKT_Pb ; -- Begin function _Z13relextrema_1DIlEviibPKT_Pb
	.globl	_Z13relextrema_1DIlEviibPKT_Pb
	.p2align	8
	.type	_Z13relextrema_1DIlEviibPKT_Pb,@function
_Z13relextrema_1DIlEviibPKT_Pb:         ; @_Z13relextrema_1DIlEviibPKT_Pb
; %bb.0:
	s_load_dword s2, s[4:5], 0x2c
	s_load_dwordx4 s[8:11], s[4:5], 0x0
	s_add_u32 s0, s4, 32
	s_addc_u32 s1, s5, 0
	s_waitcnt lgkmcnt(0)
	s_and_b32 s2, s2, 0xffff
	s_mul_i32 s18, s6, s2
	v_add_u32_e32 v2, s18, v0
	v_cmp_gt_i32_e32 vcc, s8, v2
	s_and_saveexec_b64 s[6:7], vcc
	s_cbranch_execz .LBB1_6
; %bb.1:
	s_load_dword s19, s[0:1], 0x0
	s_load_dwordx4 s[12:15], s[4:5], 0x10
	s_bitcmp1_b32 s10, 0
	s_cselect_b64 s[0:1], -1, 0
	s_cmp_gt_i32 s9, 0
	s_waitcnt lgkmcnt(0)
	s_mul_i32 s19, s19, s2
	s_cselect_b64 s[2:3], -1, 0
	v_add_u32_e32 v4, -1, v0
	v_add_u32_e32 v6, 1, v0
	v_cndmask_b32_e64 v0, 0, 1, s[2:3]
	s_add_i32 s20, s8, -1
	v_add_u32_e32 v5, s8, v4
	v_subrev_u32_e32 v7, s8, v6
	s_mov_b64 s[6:7], 0
	v_cmp_ne_u32_e64 s[2:3], 1, v0
	v_mov_b32_e32 v8, s15
	s_branch .LBB1_3
.LBB1_2:                                ;   in Loop: Header=BB1_3 Depth=1
	v_add_co_u32_e32 v0, vcc, s14, v2
	v_addc_co_u32_e32 v1, vcc, v8, v3, vcc
	v_add_u32_e32 v2, s19, v2
	v_cmp_le_i32_e32 vcc, s8, v2
	v_cndmask_b32_e64 v3, 0, 1, s[10:11]
	v_add_u32_e32 v4, s19, v4
	v_add_u32_e32 v5, s19, v5
	;; [unrolled: 1-line block ×3, first 2 shown]
	s_or_b64 s[6:7], vcc, s[6:7]
	v_add_u32_e32 v7, s19, v7
	global_store_byte v[0:1], v3, off
	s_andn2_b64 exec, exec, s[6:7]
	s_cbranch_execz .LBB1_6
.LBB1_3:                                ; =>This Loop Header: Depth=1
                                        ;     Child Loop BB1_5 Depth 2
	v_ashrrev_i32_e32 v3, 31, v2
	s_and_b64 vcc, exec, s[2:3]
	s_mov_b64 s[10:11], -1
	s_cbranch_vccnz .LBB1_2
; %bb.4:                                ;   in Loop: Header=BB1_3 Depth=1
	v_lshlrev_b64 v[0:1], 3, v[2:3]
	v_mov_b32_e32 v9, s13
	v_add_co_u32_e32 v0, vcc, s12, v0
	v_addc_co_u32_e32 v1, vcc, v9, v1, vcc
	global_load_dwordx2 v[0:1], v[0:1], off
	s_mov_b64 s[16:17], -1
	v_mov_b32_e32 v9, v7
	v_mov_b32_e32 v10, v6
	v_mov_b32_e32 v11, v5
	v_mov_b32_e32 v12, v4
	s_mov_b32 s15, s9
                                        ; implicit-def: $sgpr10_sgpr11
.LBB1_5:                                ;   Parent Loop BB1_3 Depth=1
                                        ; =>  This Inner Loop Header: Depth=2
	v_add_u32_e32 v13, s18, v10
	v_add_u32_e32 v14, s18, v9
	v_mov_b32_e32 v16, s20
	v_add_u32_e32 v15, s18, v12
	v_add_u32_e32 v17, s18, v11
	v_cndmask_b32_e64 v14, v14, v16, s[0:1]
	v_cmp_gt_i32_e64 s[4:5], s8, v13
	v_cndmask_b32_e64 v16, v17, 0, s[0:1]
	v_cmp_gt_i32_e32 vcc, 0, v15
	v_cndmask_b32_e64 v14, v14, v13, s[4:5]
	v_cndmask_b32_e32 v16, v15, v16, vcc
	v_ashrrev_i32_e32 v15, 31, v14
	v_lshlrev_b64 v[14:15], 3, v[14:15]
	v_mov_b32_e32 v18, s13
	v_ashrrev_i32_e32 v17, 31, v16
	v_add_co_u32_e32 v14, vcc, s12, v14
	v_lshlrev_b64 v[16:17], 3, v[16:17]
	v_addc_co_u32_e32 v15, vcc, v18, v15, vcc
	v_add_co_u32_e32 v16, vcc, s12, v16
	v_addc_co_u32_e32 v17, vcc, v18, v17, vcc
	global_load_dwordx2 v[18:19], v[14:15], off
	global_load_dwordx2 v[20:21], v[16:17], off
	s_andn2_b64 s[10:11], s[10:11], exec
	s_add_i32 s15, s15, -1
	v_add_u32_e32 v12, -1, v12
	v_add_u32_e32 v11, -1, v11
	v_add_u32_e32 v10, 1, v10
	v_add_u32_e32 v9, 1, v9
	s_waitcnt vmcnt(1)
	v_cmp_gt_i64_e32 vcc, v[0:1], v[18:19]
	s_waitcnt vmcnt(0)
	v_cmp_ge_i64_e64 s[4:5], v[0:1], v[20:21]
	s_and_b64 s[4:5], vcc, s[4:5]
	s_and_b64 s[16:17], s[16:17], s[4:5]
	s_and_b64 s[4:5], s[16:17], exec
	s_or_b64 s[10:11], s[10:11], s[4:5]
	s_cmp_eq_u32 s15, 0
	s_cbranch_scc0 .LBB1_5
	s_branch .LBB1_2
.LBB1_6:
	s_endpgm
	.section	.rodata,"a",@progbits
	.p2align	6, 0x0
	.amdhsa_kernel _Z13relextrema_1DIlEviibPKT_Pb
		.amdhsa_group_segment_fixed_size 0
		.amdhsa_private_segment_fixed_size 0
		.amdhsa_kernarg_size 288
		.amdhsa_user_sgpr_count 6
		.amdhsa_user_sgpr_private_segment_buffer 1
		.amdhsa_user_sgpr_dispatch_ptr 0
		.amdhsa_user_sgpr_queue_ptr 0
		.amdhsa_user_sgpr_kernarg_segment_ptr 1
		.amdhsa_user_sgpr_dispatch_id 0
		.amdhsa_user_sgpr_flat_scratch_init 0
		.amdhsa_user_sgpr_kernarg_preload_length 0
		.amdhsa_user_sgpr_kernarg_preload_offset 0
		.amdhsa_user_sgpr_private_segment_size 0
		.amdhsa_uses_dynamic_stack 0
		.amdhsa_system_sgpr_private_segment_wavefront_offset 0
		.amdhsa_system_sgpr_workgroup_id_x 1
		.amdhsa_system_sgpr_workgroup_id_y 0
		.amdhsa_system_sgpr_workgroup_id_z 0
		.amdhsa_system_sgpr_workgroup_info 0
		.amdhsa_system_vgpr_workitem_id 0
		.amdhsa_next_free_vgpr 22
		.amdhsa_next_free_sgpr 21
		.amdhsa_accum_offset 24
		.amdhsa_reserve_vcc 1
		.amdhsa_reserve_flat_scratch 0
		.amdhsa_float_round_mode_32 0
		.amdhsa_float_round_mode_16_64 0
		.amdhsa_float_denorm_mode_32 3
		.amdhsa_float_denorm_mode_16_64 3
		.amdhsa_dx10_clamp 1
		.amdhsa_ieee_mode 1
		.amdhsa_fp16_overflow 0
		.amdhsa_tg_split 0
		.amdhsa_exception_fp_ieee_invalid_op 0
		.amdhsa_exception_fp_denorm_src 0
		.amdhsa_exception_fp_ieee_div_zero 0
		.amdhsa_exception_fp_ieee_overflow 0
		.amdhsa_exception_fp_ieee_underflow 0
		.amdhsa_exception_fp_ieee_inexact 0
		.amdhsa_exception_int_div_zero 0
	.end_amdhsa_kernel
	.section	.text._Z13relextrema_1DIlEviibPKT_Pb,"axG",@progbits,_Z13relextrema_1DIlEviibPKT_Pb,comdat
.Lfunc_end1:
	.size	_Z13relextrema_1DIlEviibPKT_Pb, .Lfunc_end1-_Z13relextrema_1DIlEviibPKT_Pb
                                        ; -- End function
	.section	.AMDGPU.csdata,"",@progbits
; Kernel info:
; codeLenInByte = 468
; NumSgprs: 25
; NumVgprs: 22
; NumAgprs: 0
; TotalNumVgprs: 22
; ScratchSize: 0
; MemoryBound: 0
; FloatMode: 240
; IeeeMode: 1
; LDSByteSize: 0 bytes/workgroup (compile time only)
; SGPRBlocks: 3
; VGPRBlocks: 2
; NumSGPRsForWavesPerEU: 25
; NumVGPRsForWavesPerEU: 22
; AccumOffset: 24
; Occupancy: 8
; WaveLimiterHint : 0
; COMPUTE_PGM_RSRC2:SCRATCH_EN: 0
; COMPUTE_PGM_RSRC2:USER_SGPR: 6
; COMPUTE_PGM_RSRC2:TRAP_HANDLER: 0
; COMPUTE_PGM_RSRC2:TGID_X_EN: 1
; COMPUTE_PGM_RSRC2:TGID_Y_EN: 0
; COMPUTE_PGM_RSRC2:TGID_Z_EN: 0
; COMPUTE_PGM_RSRC2:TIDIG_COMP_CNT: 0
; COMPUTE_PGM_RSRC3_GFX90A:ACCUM_OFFSET: 5
; COMPUTE_PGM_RSRC3_GFX90A:TG_SPLIT: 0
	.section	.text._Z13relextrema_1DIfEviibPKT_Pb,"axG",@progbits,_Z13relextrema_1DIfEviibPKT_Pb,comdat
	.protected	_Z13relextrema_1DIfEviibPKT_Pb ; -- Begin function _Z13relextrema_1DIfEviibPKT_Pb
	.globl	_Z13relextrema_1DIfEviibPKT_Pb
	.p2align	8
	.type	_Z13relextrema_1DIfEviibPKT_Pb,@function
_Z13relextrema_1DIfEviibPKT_Pb:         ; @_Z13relextrema_1DIfEviibPKT_Pb
; %bb.0:
	s_load_dword s2, s[4:5], 0x2c
	s_load_dwordx4 s[12:15], s[4:5], 0x0
	s_add_u32 s0, s4, 32
	s_addc_u32 s1, s5, 0
	s_waitcnt lgkmcnt(0)
	s_and_b32 s3, s2, 0xffff
	s_mul_i32 s2, s6, s3
	v_add_u32_e32 v6, s2, v0
	v_cmp_gt_i32_e32 vcc, s12, v6
	s_and_saveexec_b64 s[6:7], vcc
	s_cbranch_execz .LBB2_11
; %bb.1:
	s_bitcmp1_b32 s14, 0
	s_load_dword s31, s[0:1], 0x0
	s_load_dwordx4 s[16:19], s[4:5], 0x10
	s_cselect_b64 s[0:1], -1, 0
	s_cmp_gt_i32 s13, 0
	s_cselect_b64 s[4:5], -1, 0
	s_add_i32 s33, s12, -1
	s_cmp_lg_u32 s13, 1
	s_cselect_b64 s[10:11], -1, 0
	s_and_b32 s34, s13, 0x7ffffffe
	s_or_b32 s35, s13, 1
	s_cmp_lg_u32 s34, s13
	s_cselect_b64 s[14:15], -1, 0
	s_add_i32 s2, s2, s12
	v_add_u32_e32 v7, s2, v0
	v_cndmask_b32_e64 v0, 0, 1, s[4:5]
	s_mov_b32 s30, 0
	s_waitcnt lgkmcnt(0)
	s_mul_i32 s31, s31, s3
	s_mov_b32 s36, s12
	s_mov_b32 s37, s12
	s_add_i32 s13, s13, 1
	v_subrev_u32_e32 v8, s12, v6
	s_mov_b64 s[20:21], 0
	v_cmp_ne_u32_e64 s[2:3], 1, v0
	v_mov_b32_e32 v9, s33
	v_mov_b32_e32 v10, s33
	;; [unrolled: 1-line block ×4, first 2 shown]
                                        ; implicit-def: $sgpr6_sgpr7
	s_branch .LBB2_3
.LBB2_2:                                ;   in Loop: Header=BB2_3 Depth=1
	v_mov_b32_e32 v3, s19
	s_waitcnt vmcnt(0)
	v_add_co_u32_e32 v2, vcc, s18, v0
	v_addc_co_u32_e32 v3, vcc, v3, v1, vcc
	v_add_u32_e32 v0, s31, v0
	s_add_i32 s30, s30, s31
	v_cmp_le_i32_e32 vcc, s12, v0
	v_cndmask_b32_e64 v1, 0, 1, s[6:7]
	s_or_b64 s[20:21], vcc, s[20:21]
	global_store_byte v[2:3], v1, off
	s_andn2_b64 exec, exec, s[20:21]
	s_cbranch_execz .LBB2_11
.LBB2_3:                                ; =>This Loop Header: Depth=1
                                        ;     Child Loop BB2_6 Depth 2
                                        ;     Child Loop BB2_10 Depth 2
	v_ashrrev_i32_e32 v1, 31, v0
	s_and_b64 vcc, exec, s[2:3]
	s_or_b64 s[6:7], s[6:7], exec
	s_cbranch_vccnz .LBB2_2
; %bb.4:                                ;   in Loop: Header=BB2_3 Depth=1
	v_lshlrev_b64 v[2:3], 2, v[0:1]
	v_mov_b32_e32 v4, s17
	v_add_co_u32_e32 v2, vcc, s16, v2
	v_addc_co_u32_e32 v3, vcc, v4, v3, vcc
	global_load_dword v2, v[2:3], off
	s_and_b64 vcc, exec, s[10:11]
	s_cbranch_vccz .LBB2_8
; %bb.5:                                ;   in Loop: Header=BB2_3 Depth=1
	v_mov_b32_e32 v4, v0
	v_mov_b32_e32 v3, v0
	s_waitcnt vmcnt(0)
	v_mov_b32_e32 v5, v2
	s_mov_b64 s[22:23], -1
	s_mov_b64 s[24:25], -1
	s_mov_b32 s38, 2
	s_mov_b32 s39, 1
	;; [unrolled: 1-line block ×3, first 2 shown]
                                        ; implicit-def: $sgpr26_sgpr27
                                        ; implicit-def: $sgpr28_sgpr29
.LBB2_6:                                ;   Parent Loop BB2_3 Depth=1
                                        ; =>  This Inner Loop Header: Depth=2
	v_add_u32_e32 v12, s39, v4
	v_add_u32_e32 v13, s38, v3
	v_subrev_u32_e32 v14, s36, v12
	v_subrev_u32_e32 v16, s37, v13
	v_cndmask_b32_e64 v14, v14, v10, s[0:1]
	v_cmp_gt_i32_e64 s[8:9], s36, v12
	v_subrev_u32_e32 v15, s39, v4
	v_cndmask_b32_e64 v16, v16, v9, s[0:1]
	v_cmp_gt_i32_e32 vcc, s37, v13
	v_cndmask_b32_e64 v12, v14, v12, s[8:9]
	v_add_u32_e32 v18, s36, v15
	v_cndmask_b32_e32 v14, v16, v13, vcc
	v_ashrrev_i32_e32 v13, 31, v12
	v_subrev_u32_e32 v17, s38, v3
	v_cndmask_b32_e64 v18, v18, 0, s[0:1]
	v_cmp_gt_i32_e64 s[6:7], 0, v15
	v_lshlrev_b64 v[12:13], 2, v[12:13]
	v_add_u32_e32 v19, s37, v17
	v_cndmask_b32_e64 v16, v15, v18, s[6:7]
	v_ashrrev_i32_e32 v15, 31, v14
	v_add_co_u32_e32 v12, vcc, s16, v12
	v_cndmask_b32_e64 v19, v19, 0, s[0:1]
	v_cmp_gt_i32_e64 s[4:5], 0, v17
	v_lshlrev_b64 v[14:15], 2, v[14:15]
	v_addc_co_u32_e32 v13, vcc, v11, v13, vcc
	v_cndmask_b32_e64 v18, v17, v19, s[4:5]
	v_ashrrev_i32_e32 v17, 31, v16
	v_add_co_u32_e32 v14, vcc, s16, v14
	v_lshlrev_b64 v[16:17], 2, v[16:17]
	v_addc_co_u32_e32 v15, vcc, v11, v15, vcc
	v_ashrrev_i32_e32 v19, 31, v18
	v_add_co_u32_e32 v16, vcc, s16, v16
	v_lshlrev_b64 v[18:19], 2, v[18:19]
	v_addc_co_u32_e32 v17, vcc, v11, v17, vcc
	v_add_co_u32_e32 v18, vcc, s16, v18
	v_addc_co_u32_e32 v19, vcc, v11, v19, vcc
	global_load_dword v20, v[14:15], off
	global_load_dword v21, v[12:13], off
	;; [unrolled: 1-line block ×4, first 2 shown]
	s_andn2_b64 s[28:29], s[28:29], exec
	s_andn2_b64 s[26:27], s[26:27], exec
	s_add_i32 s39, s39, 2
	s_add_i32 s38, s38, 2
	s_add_i32 s40, s40, -2
	s_waitcnt vmcnt(3)
	v_cmp_gt_f32_e32 vcc, v5, v20
	s_waitcnt vmcnt(2)
	v_cmp_gt_f32_e64 s[4:5], v2, v21
	s_waitcnt vmcnt(1)
	v_cmp_ge_f32_e64 s[6:7], v5, v22
	s_waitcnt vmcnt(0)
	v_cmp_ge_f32_e64 s[8:9], v2, v23
	s_and_b64 s[4:5], s[4:5], s[8:9]
	s_and_b64 s[6:7], vcc, s[6:7]
	s_and_b64 s[22:23], s[22:23], s[6:7]
	s_and_b64 s[24:25], s[24:25], s[4:5]
	s_and_b64 s[4:5], s[24:25], exec
	s_and_b64 s[6:7], s[22:23], exec
	s_or_b64 s[28:29], s[28:29], s[4:5]
	s_or_b64 s[26:27], s[26:27], s[6:7]
	s_cmp_lg_u32 s40, 0
	s_cbranch_scc1 .LBB2_6
; %bb.7:                                ;   in Loop: Header=BB2_3 Depth=1
	v_cndmask_b32_e64 v3, 0, 1, s[26:27]
	v_lshlrev_b16_e32 v3, 1, v3
	v_cndmask_b32_e64 v4, 0, 1, s[28:29]
	v_or_b32_e32 v3, v4, v3
	v_and_b32_e32 v3, 3, v3
	v_cmp_eq_u16_e64 s[8:9], 3, v3
	s_mov_b64 s[6:7], s[8:9]
	s_mov_b32 s23, s35
	s_mov_b64 s[4:5], s[14:15]
	s_and_b64 vcc, exec, s[4:5]
	s_cbranch_vccz .LBB2_2
	s_branch .LBB2_9
.LBB2_8:                                ;   in Loop: Header=BB2_3 Depth=1
	s_mov_b32 s23, 1
	s_mov_b64 s[8:9], -1
                                        ; implicit-def: $sgpr6_sgpr7
	s_cbranch_execz .LBB2_2
.LBB2_9:                                ;   in Loop: Header=BB2_3 Depth=1
	s_sub_i32 s22, s13, s23
	v_subrev_u32_e32 v3, s23, v6
	v_subrev_u32_e32 v4, s23, v7
	v_add_u32_e32 v5, s23, v6
	v_add_u32_e32 v12, s23, v8
                                        ; implicit-def: $sgpr6_sgpr7
.LBB2_10:                               ;   Parent Loop BB2_3 Depth=1
                                        ; =>  This Inner Loop Header: Depth=2
	v_add_u32_e32 v13, s30, v5
	v_add_u32_e32 v14, s30, v12
	v_mov_b32_e32 v16, s33
	v_add_u32_e32 v15, s30, v3
	v_add_u32_e32 v17, s30, v4
	v_cndmask_b32_e64 v14, v14, v16, s[0:1]
	v_cmp_gt_i32_e64 s[4:5], s12, v13
	v_cndmask_b32_e64 v16, v17, 0, s[0:1]
	v_cmp_gt_i32_e32 vcc, 0, v15
	v_cndmask_b32_e64 v14, v14, v13, s[4:5]
	v_cndmask_b32_e32 v16, v15, v16, vcc
	v_ashrrev_i32_e32 v15, 31, v14
	v_lshlrev_b64 v[14:15], 2, v[14:15]
	v_ashrrev_i32_e32 v17, 31, v16
	v_add_co_u32_e32 v14, vcc, s16, v14
	v_lshlrev_b64 v[16:17], 2, v[16:17]
	v_addc_co_u32_e32 v15, vcc, v11, v15, vcc
	v_add_co_u32_e32 v16, vcc, s16, v16
	v_addc_co_u32_e32 v17, vcc, v11, v17, vcc
	global_load_dword v13, v[14:15], off
	global_load_dword v18, v[16:17], off
	s_andn2_b64 s[6:7], s[6:7], exec
	s_add_i32 s22, s22, -1
	v_add_u32_e32 v3, -1, v3
	v_add_u32_e32 v4, -1, v4
	v_add_u32_e32 v5, 1, v5
	v_add_u32_e32 v12, 1, v12
	s_waitcnt vmcnt(1)
	v_cmp_gt_f32_e32 vcc, v2, v13
	s_waitcnt vmcnt(0)
	v_cmp_ge_f32_e64 s[4:5], v2, v18
	s_and_b64 s[4:5], vcc, s[4:5]
	s_and_b64 s[8:9], s[8:9], s[4:5]
	s_and_b64 s[4:5], s[8:9], exec
	s_or_b64 s[6:7], s[6:7], s[4:5]
	s_cmp_eq_u32 s22, 0
	s_cbranch_scc0 .LBB2_10
	s_branch .LBB2_2
.LBB2_11:
	s_endpgm
	.section	.rodata,"a",@progbits
	.p2align	6, 0x0
	.amdhsa_kernel _Z13relextrema_1DIfEviibPKT_Pb
		.amdhsa_group_segment_fixed_size 0
		.amdhsa_private_segment_fixed_size 0
		.amdhsa_kernarg_size 288
		.amdhsa_user_sgpr_count 6
		.amdhsa_user_sgpr_private_segment_buffer 1
		.amdhsa_user_sgpr_dispatch_ptr 0
		.amdhsa_user_sgpr_queue_ptr 0
		.amdhsa_user_sgpr_kernarg_segment_ptr 1
		.amdhsa_user_sgpr_dispatch_id 0
		.amdhsa_user_sgpr_flat_scratch_init 0
		.amdhsa_user_sgpr_kernarg_preload_length 0
		.amdhsa_user_sgpr_kernarg_preload_offset 0
		.amdhsa_user_sgpr_private_segment_size 0
		.amdhsa_uses_dynamic_stack 0
		.amdhsa_system_sgpr_private_segment_wavefront_offset 0
		.amdhsa_system_sgpr_workgroup_id_x 1
		.amdhsa_system_sgpr_workgroup_id_y 0
		.amdhsa_system_sgpr_workgroup_id_z 0
		.amdhsa_system_sgpr_workgroup_info 0
		.amdhsa_system_vgpr_workitem_id 0
		.amdhsa_next_free_vgpr 24
		.amdhsa_next_free_sgpr 41
		.amdhsa_accum_offset 24
		.amdhsa_reserve_vcc 1
		.amdhsa_reserve_flat_scratch 0
		.amdhsa_float_round_mode_32 0
		.amdhsa_float_round_mode_16_64 0
		.amdhsa_float_denorm_mode_32 3
		.amdhsa_float_denorm_mode_16_64 3
		.amdhsa_dx10_clamp 1
		.amdhsa_ieee_mode 1
		.amdhsa_fp16_overflow 0
		.amdhsa_tg_split 0
		.amdhsa_exception_fp_ieee_invalid_op 0
		.amdhsa_exception_fp_denorm_src 0
		.amdhsa_exception_fp_ieee_div_zero 0
		.amdhsa_exception_fp_ieee_overflow 0
		.amdhsa_exception_fp_ieee_underflow 0
		.amdhsa_exception_fp_ieee_inexact 0
		.amdhsa_exception_int_div_zero 0
	.end_amdhsa_kernel
	.section	.text._Z13relextrema_1DIfEviibPKT_Pb,"axG",@progbits,_Z13relextrema_1DIfEviibPKT_Pb,comdat
.Lfunc_end2:
	.size	_Z13relextrema_1DIfEviibPKT_Pb, .Lfunc_end2-_Z13relextrema_1DIfEviibPKT_Pb
                                        ; -- End function
	.section	.AMDGPU.csdata,"",@progbits
; Kernel info:
; codeLenInByte = 960
; NumSgprs: 45
; NumVgprs: 24
; NumAgprs: 0
; TotalNumVgprs: 24
; ScratchSize: 0
; MemoryBound: 0
; FloatMode: 240
; IeeeMode: 1
; LDSByteSize: 0 bytes/workgroup (compile time only)
; SGPRBlocks: 5
; VGPRBlocks: 2
; NumSGPRsForWavesPerEU: 45
; NumVGPRsForWavesPerEU: 24
; AccumOffset: 24
; Occupancy: 8
; WaveLimiterHint : 0
; COMPUTE_PGM_RSRC2:SCRATCH_EN: 0
; COMPUTE_PGM_RSRC2:USER_SGPR: 6
; COMPUTE_PGM_RSRC2:TRAP_HANDLER: 0
; COMPUTE_PGM_RSRC2:TGID_X_EN: 1
; COMPUTE_PGM_RSRC2:TGID_Y_EN: 0
; COMPUTE_PGM_RSRC2:TGID_Z_EN: 0
; COMPUTE_PGM_RSRC2:TIDIG_COMP_CNT: 0
; COMPUTE_PGM_RSRC3_GFX90A:ACCUM_OFFSET: 5
; COMPUTE_PGM_RSRC3_GFX90A:TG_SPLIT: 0
	.section	.text._Z13relextrema_1DIdEviibPKT_Pb,"axG",@progbits,_Z13relextrema_1DIdEviibPKT_Pb,comdat
	.protected	_Z13relextrema_1DIdEviibPKT_Pb ; -- Begin function _Z13relextrema_1DIdEviibPKT_Pb
	.globl	_Z13relextrema_1DIdEviibPKT_Pb
	.p2align	8
	.type	_Z13relextrema_1DIdEviibPKT_Pb,@function
_Z13relextrema_1DIdEviibPKT_Pb:         ; @_Z13relextrema_1DIdEviibPKT_Pb
; %bb.0:
	s_load_dword s2, s[4:5], 0x2c
	s_load_dwordx4 s[8:11], s[4:5], 0x0
	s_add_u32 s0, s4, 32
	s_addc_u32 s1, s5, 0
	s_waitcnt lgkmcnt(0)
	s_and_b32 s2, s2, 0xffff
	s_mul_i32 s18, s6, s2
	v_add_u32_e32 v2, s18, v0
	v_cmp_gt_i32_e32 vcc, s8, v2
	s_and_saveexec_b64 s[6:7], vcc
	s_cbranch_execz .LBB3_6
; %bb.1:
	s_load_dword s19, s[0:1], 0x0
	s_load_dwordx4 s[12:15], s[4:5], 0x10
	s_bitcmp1_b32 s10, 0
	s_cselect_b64 s[0:1], -1, 0
	s_cmp_gt_i32 s9, 0
	s_waitcnt lgkmcnt(0)
	s_mul_i32 s19, s19, s2
	s_cselect_b64 s[2:3], -1, 0
	v_add_u32_e32 v4, -1, v0
	v_add_u32_e32 v6, 1, v0
	v_cndmask_b32_e64 v0, 0, 1, s[2:3]
	s_add_i32 s20, s8, -1
	v_add_u32_e32 v5, s8, v4
	v_subrev_u32_e32 v7, s8, v6
	s_mov_b64 s[6:7], 0
	v_cmp_ne_u32_e64 s[2:3], 1, v0
	v_mov_b32_e32 v8, s15
	s_branch .LBB3_3
.LBB3_2:                                ;   in Loop: Header=BB3_3 Depth=1
	v_add_co_u32_e32 v0, vcc, s14, v2
	v_addc_co_u32_e32 v1, vcc, v8, v3, vcc
	v_add_u32_e32 v2, s19, v2
	v_cmp_le_i32_e32 vcc, s8, v2
	v_cndmask_b32_e64 v3, 0, 1, s[10:11]
	v_add_u32_e32 v4, s19, v4
	v_add_u32_e32 v5, s19, v5
	v_add_u32_e32 v6, s19, v6
	s_or_b64 s[6:7], vcc, s[6:7]
	v_add_u32_e32 v7, s19, v7
	global_store_byte v[0:1], v3, off
	s_andn2_b64 exec, exec, s[6:7]
	s_cbranch_execz .LBB3_6
.LBB3_3:                                ; =>This Loop Header: Depth=1
                                        ;     Child Loop BB3_5 Depth 2
	v_ashrrev_i32_e32 v3, 31, v2
	s_and_b64 vcc, exec, s[2:3]
	s_mov_b64 s[10:11], -1
	s_cbranch_vccnz .LBB3_2
; %bb.4:                                ;   in Loop: Header=BB3_3 Depth=1
	v_lshlrev_b64 v[0:1], 3, v[2:3]
	v_mov_b32_e32 v9, s13
	v_add_co_u32_e32 v0, vcc, s12, v0
	v_addc_co_u32_e32 v1, vcc, v9, v1, vcc
	global_load_dwordx2 v[0:1], v[0:1], off
	s_mov_b64 s[16:17], -1
	v_mov_b32_e32 v9, v7
	v_mov_b32_e32 v10, v6
	v_mov_b32_e32 v11, v5
	v_mov_b32_e32 v12, v4
	s_mov_b32 s15, s9
                                        ; implicit-def: $sgpr10_sgpr11
.LBB3_5:                                ;   Parent Loop BB3_3 Depth=1
                                        ; =>  This Inner Loop Header: Depth=2
	v_add_u32_e32 v13, s18, v10
	v_add_u32_e32 v14, s18, v9
	v_mov_b32_e32 v16, s20
	v_add_u32_e32 v15, s18, v12
	v_add_u32_e32 v17, s18, v11
	v_cndmask_b32_e64 v14, v14, v16, s[0:1]
	v_cmp_gt_i32_e64 s[4:5], s8, v13
	v_cndmask_b32_e64 v16, v17, 0, s[0:1]
	v_cmp_gt_i32_e32 vcc, 0, v15
	v_cndmask_b32_e64 v14, v14, v13, s[4:5]
	v_cndmask_b32_e32 v16, v15, v16, vcc
	v_ashrrev_i32_e32 v15, 31, v14
	v_lshlrev_b64 v[14:15], 3, v[14:15]
	v_mov_b32_e32 v18, s13
	v_ashrrev_i32_e32 v17, 31, v16
	v_add_co_u32_e32 v14, vcc, s12, v14
	v_lshlrev_b64 v[16:17], 3, v[16:17]
	v_addc_co_u32_e32 v15, vcc, v18, v15, vcc
	v_add_co_u32_e32 v16, vcc, s12, v16
	v_addc_co_u32_e32 v17, vcc, v18, v17, vcc
	global_load_dwordx2 v[18:19], v[14:15], off
	global_load_dwordx2 v[20:21], v[16:17], off
	s_andn2_b64 s[10:11], s[10:11], exec
	s_add_i32 s15, s15, -1
	v_add_u32_e32 v12, -1, v12
	v_add_u32_e32 v11, -1, v11
	v_add_u32_e32 v10, 1, v10
	v_add_u32_e32 v9, 1, v9
	s_waitcnt vmcnt(1)
	v_cmp_gt_f64_e32 vcc, v[0:1], v[18:19]
	s_waitcnt vmcnt(0)
	v_cmp_ge_f64_e64 s[4:5], v[0:1], v[20:21]
	s_and_b64 s[4:5], vcc, s[4:5]
	s_and_b64 s[16:17], s[16:17], s[4:5]
	s_and_b64 s[4:5], s[16:17], exec
	s_or_b64 s[10:11], s[10:11], s[4:5]
	s_cmp_eq_u32 s15, 0
	s_cbranch_scc0 .LBB3_5
	s_branch .LBB3_2
.LBB3_6:
	s_endpgm
	.section	.rodata,"a",@progbits
	.p2align	6, 0x0
	.amdhsa_kernel _Z13relextrema_1DIdEviibPKT_Pb
		.amdhsa_group_segment_fixed_size 0
		.amdhsa_private_segment_fixed_size 0
		.amdhsa_kernarg_size 288
		.amdhsa_user_sgpr_count 6
		.amdhsa_user_sgpr_private_segment_buffer 1
		.amdhsa_user_sgpr_dispatch_ptr 0
		.amdhsa_user_sgpr_queue_ptr 0
		.amdhsa_user_sgpr_kernarg_segment_ptr 1
		.amdhsa_user_sgpr_dispatch_id 0
		.amdhsa_user_sgpr_flat_scratch_init 0
		.amdhsa_user_sgpr_kernarg_preload_length 0
		.amdhsa_user_sgpr_kernarg_preload_offset 0
		.amdhsa_user_sgpr_private_segment_size 0
		.amdhsa_uses_dynamic_stack 0
		.amdhsa_system_sgpr_private_segment_wavefront_offset 0
		.amdhsa_system_sgpr_workgroup_id_x 1
		.amdhsa_system_sgpr_workgroup_id_y 0
		.amdhsa_system_sgpr_workgroup_id_z 0
		.amdhsa_system_sgpr_workgroup_info 0
		.amdhsa_system_vgpr_workitem_id 0
		.amdhsa_next_free_vgpr 22
		.amdhsa_next_free_sgpr 21
		.amdhsa_accum_offset 24
		.amdhsa_reserve_vcc 1
		.amdhsa_reserve_flat_scratch 0
		.amdhsa_float_round_mode_32 0
		.amdhsa_float_round_mode_16_64 0
		.amdhsa_float_denorm_mode_32 3
		.amdhsa_float_denorm_mode_16_64 3
		.amdhsa_dx10_clamp 1
		.amdhsa_ieee_mode 1
		.amdhsa_fp16_overflow 0
		.amdhsa_tg_split 0
		.amdhsa_exception_fp_ieee_invalid_op 0
		.amdhsa_exception_fp_denorm_src 0
		.amdhsa_exception_fp_ieee_div_zero 0
		.amdhsa_exception_fp_ieee_overflow 0
		.amdhsa_exception_fp_ieee_underflow 0
		.amdhsa_exception_fp_ieee_inexact 0
		.amdhsa_exception_int_div_zero 0
	.end_amdhsa_kernel
	.section	.text._Z13relextrema_1DIdEviibPKT_Pb,"axG",@progbits,_Z13relextrema_1DIdEviibPKT_Pb,comdat
.Lfunc_end3:
	.size	_Z13relextrema_1DIdEviibPKT_Pb, .Lfunc_end3-_Z13relextrema_1DIdEviibPKT_Pb
                                        ; -- End function
	.section	.AMDGPU.csdata,"",@progbits
; Kernel info:
; codeLenInByte = 468
; NumSgprs: 25
; NumVgprs: 22
; NumAgprs: 0
; TotalNumVgprs: 22
; ScratchSize: 0
; MemoryBound: 0
; FloatMode: 240
; IeeeMode: 1
; LDSByteSize: 0 bytes/workgroup (compile time only)
; SGPRBlocks: 3
; VGPRBlocks: 2
; NumSGPRsForWavesPerEU: 25
; NumVGPRsForWavesPerEU: 22
; AccumOffset: 24
; Occupancy: 8
; WaveLimiterHint : 0
; COMPUTE_PGM_RSRC2:SCRATCH_EN: 0
; COMPUTE_PGM_RSRC2:USER_SGPR: 6
; COMPUTE_PGM_RSRC2:TRAP_HANDLER: 0
; COMPUTE_PGM_RSRC2:TGID_X_EN: 1
; COMPUTE_PGM_RSRC2:TGID_Y_EN: 0
; COMPUTE_PGM_RSRC2:TGID_Z_EN: 0
; COMPUTE_PGM_RSRC2:TIDIG_COMP_CNT: 0
; COMPUTE_PGM_RSRC3_GFX90A:ACCUM_OFFSET: 5
; COMPUTE_PGM_RSRC3_GFX90A:TG_SPLIT: 0
	.section	.text._Z13relextrema_2DIiEviiibiPKT_Pb,"axG",@progbits,_Z13relextrema_2DIiEviiibiPKT_Pb,comdat
	.protected	_Z13relextrema_2DIiEviiibiPKT_Pb ; -- Begin function _Z13relextrema_2DIiEviiibiPKT_Pb
	.globl	_Z13relextrema_2DIiEviiibiPKT_Pb
	.p2align	8
	.type	_Z13relextrema_2DIiEviiibiPKT_Pb,@function
_Z13relextrema_2DIiEviiibiPKT_Pb:       ; @_Z13relextrema_2DIiEviiibiPKT_Pb
; %bb.0:
	s_load_dword s0, s[4:5], 0x34
	s_load_dwordx4 s[20:23], s[4:5], 0x0
	v_and_b32_e32 v12, 0x3ff, v0
	v_bfe_u32 v11, v0, 10, 10
	s_waitcnt lgkmcnt(0)
	s_lshr_b32 s1, s0, 16
	s_and_b32 s0, s0, 0xffff
	s_mul_i32 s49, s6, s0
	s_mul_i32 s48, s7, s1
	v_add_u32_e32 v2, s49, v12
	v_add_u32_e32 v0, s48, v11
	v_cmp_gt_i32_e32 vcc, s21, v0
	v_cmp_gt_i32_e64 s[0:1], s20, v2
	s_and_b64 s[0:1], vcc, s[0:1]
	s_and_saveexec_b64 s[2:3], s[0:1]
	s_cbranch_execz .LBB4_14
; %bb.1:
	s_load_dword s2, s[4:5], 0x10
	s_load_dwordx2 s[24:25], s[4:5], 0x20
	v_mul_lo_u32 v6, v0, s20
	v_add_u32_e32 v4, v6, v2
	v_ashrrev_i32_e32 v5, 31, v4
	s_mov_b64 s[6:7], -1
	s_cmp_lt_i32 s22, 1
	s_mov_b32 s9, 1
	s_cbranch_scc1 .LBB4_13
; %bb.2:
	s_load_dwordx2 s[26:27], s[4:5], 0x18
	v_lshlrev_b64 v[8:9], 2, v[4:5]
	s_bitcmp1_b32 s23, 0
	s_cselect_b64 s[0:1], -1, 0
	s_waitcnt lgkmcnt(0)
	s_cmp_eq_u32 s2, 0
	v_mov_b32_e32 v1, s27
	v_add_co_u32_e32 v8, vcc, s26, v8
	v_addc_co_u32_e32 v9, vcc, v1, v9, vcc
	global_load_dword v8, v[8:9], off
	s_cselect_b64 vcc, -1, 0
	s_cmp_lg_u32 s2, 0
	s_cselect_b64 s[28:29], -1, 0
	s_add_i32 s23, s20, -1
	s_add_i32 s33, s21, -1
	s_cmp_gt_u32 s22, 3
	s_mov_b32 s51, 2
	s_cbranch_scc0 .LBB4_6
; %bb.3:
	s_and_b32 s50, s22, 0x7ffffffc
	v_mov_b32_e32 v3, v2
	s_mov_b32 s52, s20
	s_mov_b32 s53, s20
	v_mov_b32_e32 v1, v6
	v_mov_b32_e32 v7, v0
	s_mov_b32 s54, s21
	s_mov_b32 s55, s21
	s_waitcnt vmcnt(0)
	v_mov_b32_e32 v9, v8
	s_mov_b64 s[30:31], -1
	s_mov_b64 s[34:35], -1
	s_mov_b32 s56, 1
	v_mov_b32_e32 v13, s23
	v_mov_b32_e32 v14, s23
	;; [unrolled: 1-line block ×6, first 2 shown]
	s_mov_b64 s[36:37], -1
	s_mov_b64 s[38:39], -1
	s_mov_b32 s57, s50
                                        ; implicit-def: $sgpr40_sgpr41
                                        ; implicit-def: $sgpr42_sgpr43
                                        ; implicit-def: $sgpr44_sgpr45
                                        ; implicit-def: $sgpr46_sgpr47
.LBB4_4:                                ; =>This Inner Loop Header: Depth=1
	s_add_i32 s2, s51, 2
	s_add_i32 s3, s56, 2
	v_add_u32_e32 v18, s56, v2
	v_add_u32_e32 v19, s51, v3
	v_subrev_u32_e32 v20, s56, v2
	v_subrev_u32_e32 v21, s51, v3
	v_add_u32_e32 v22, s56, v0
	v_add_u32_e32 v23, s51, v7
	v_subrev_u32_e32 v24, s56, v0
	v_subrev_u32_e32 v25, s51, v7
	;; [unrolled: 4-line block ×3, first 2 shown]
	v_subrev_u32_e32 v30, s52, v18
	v_subrev_u32_e32 v31, s53, v19
	v_add_u32_e32 v32, s52, v20
	v_add_u32_e32 v33, s53, v21
	;; [unrolled: 1-line block ×3, first 2 shown]
	v_subrev_u32_e32 v38, s54, v22
	v_subrev_u32_e32 v39, s55, v23
	v_add_u32_e32 v40, s54, v24
	v_add_u32_e32 v41, s55, v25
	;; [unrolled: 1-line block ×3, first 2 shown]
	v_subrev_u32_e32 v36, s3, v0
	v_subrev_u32_e32 v37, s2, v7
	v_cndmask_b32_e64 v31, v31, v13, s[0:1]
	v_cmp_gt_i32_e64 s[2:3], s53, v19
	v_subrev_u32_e32 v42, s52, v26
	v_subrev_u32_e32 v43, s53, v27
	v_cndmask_b32_e64 v30, v30, v14, s[0:1]
	v_cndmask_b32_e64 v33, v33, 0, s[0:1]
	v_cmp_gt_i32_e64 s[4:5], 0, v21
	v_cndmask_b32_e64 v32, v32, 0, s[0:1]
	v_cmp_gt_i32_e64 s[6:7], 0, v20
	v_add_u32_e32 v44, s52, v28
	v_add_u32_e32 v45, s53, v29
	v_cndmask_b32_e64 v39, v39, v15, s[0:1]
	v_cmp_gt_i32_e64 s[8:9], s55, v23
	v_cndmask_b32_e64 v38, v38, v16, s[0:1]
	v_cmp_gt_i32_e64 s[10:11], s54, v22
	v_subrev_u32_e32 v46, s54, v34
	v_cndmask_b32_e64 v41, v41, 0, s[0:1]
	v_cmp_gt_i32_e64 s[12:13], 0, v25
	v_cndmask_b32_e64 v40, v40, 0, s[0:1]
	v_cmp_gt_i32_e64 s[14:15], 0, v24
	v_cmp_gt_i32_e64 s[16:17], s52, v18
	v_cndmask_b32_e64 v43, v43, v13, s[0:1]
	v_cmp_gt_i32_e64 s[18:19], s53, v27
	v_cndmask_b32_e64 v42, v42, v14, s[0:1]
	v_cndmask_b32_e64 v18, v30, v18, s[16:17]
	;; [unrolled: 1-line block ×4, first 2 shown]
	v_cmp_gt_i32_e64 s[2:3], 0, v29
	v_cndmask_b32_e64 v31, v44, 0, s[0:1]
	v_cmp_gt_i32_e64 s[16:17], 0, v28
	v_cndmask_b32_e64 v20, v20, v32, s[6:7]
	v_cndmask_b32_e64 v21, v21, v33, s[4:5]
	;; [unrolled: 1-line block ×3, first 2 shown]
	v_cmp_gt_i32_e64 s[6:7], s54, v34
	v_cndmask_b32_e64 v22, v38, v22, s[10:11]
	v_cndmask_b32_e64 v23, v39, v23, s[8:9]
	;; [unrolled: 1-line block ×4, first 2 shown]
	v_cmp_gt_i32_e64 s[12:13], s52, v26
	v_subrev_u32_e32 v47, s55, v35
	v_add_u32_e32 v48, s54, v36
	v_add_u32_e32 v49, s55, v37
	v_cndmask_b32_e64 v26, v42, v26, s[12:13]
	v_cndmask_b32_e64 v27, v43, v27, s[18:19]
	;; [unrolled: 1-line block ×4, first 2 shown]
	v_add_u32_e32 v40, v19, v1
	v_add_u32_e32 v41, v18, v6
	;; [unrolled: 1-line block ×4, first 2 shown]
	v_cndmask_b32_e64 v30, v33, v34, s[6:7]
	v_mad_u64_u32 v[18:19], s[2:3], v23, s53, v[10:11]
	v_mad_u64_u32 v[20:21], s[2:3], v22, s52, v[2:3]
	;; [unrolled: 1-line block ×4, first 2 shown]
	v_cndmask_b32_e64 v32, v47, v15, s[0:1]
	v_cmp_gt_i32_e64 s[4:5], s55, v35
	v_cndmask_b32_e64 v38, v49, 0, s[0:1]
	v_cmp_gt_i32_e64 s[8:9], 0, v37
	;; [unrolled: 2-line block ×3, first 2 shown]
	v_add_u32_e32 v21, v26, v6
	v_add_u32_e32 v23, v29, v1
	;; [unrolled: 1-line block ×3, first 2 shown]
	v_mad_u64_u32 v[28:29], s[2:3], v30, s52, v[2:3]
	v_cndmask_b32_e32 v20, v41, v20, vcc
	v_cndmask_b32_e64 v31, v32, v35, s[4:5]
	v_cndmask_b32_e64 v32, v36, v39, s[10:11]
	;; [unrolled: 1-line block ×3, first 2 shown]
	v_cndmask_b32_e32 v28, v21, v28, vcc
	v_ashrrev_i32_e32 v21, 31, v20
	v_add_u32_e32 v19, v27, v1
	v_mad_u64_u32 v[26:27], s[2:3], v31, s53, v[10:11]
	v_mad_u64_u32 v[30:31], s[2:3], v33, s53, v[10:11]
	;; [unrolled: 1-line block ×3, first 2 shown]
	v_cndmask_b32_e32 v18, v40, v18, vcc
	v_lshlrev_b64 v[20:21], 2, v[20:21]
	v_cndmask_b32_e32 v26, v19, v26, vcc
	v_ashrrev_i32_e32 v19, 31, v18
	v_add_co_u32_e64 v20, s[2:3], s26, v20
	v_cndmask_b32_e32 v24, v43, v24, vcc
	v_lshlrev_b64 v[18:19], 2, v[18:19]
	v_addc_co_u32_e64 v21, s[2:3], v17, v21, s[2:3]
	v_cndmask_b32_e32 v32, v25, v32, vcc
	v_ashrrev_i32_e32 v25, 31, v24
	v_add_co_u32_e64 v18, s[2:3], s26, v18
	v_cndmask_b32_e32 v22, v42, v22, vcc
	v_lshlrev_b64 v[24:25], 2, v[24:25]
	v_addc_co_u32_e64 v19, s[2:3], v17, v19, s[2:3]
	v_cndmask_b32_e32 v30, v23, v30, vcc
	v_ashrrev_i32_e32 v23, 31, v22
	v_add_co_u32_e64 v24, s[2:3], s26, v24
	v_lshlrev_b64 v[22:23], 2, v[22:23]
	v_addc_co_u32_e64 v25, s[2:3], v17, v25, s[2:3]
	v_ashrrev_i32_e32 v29, 31, v28
	v_add_co_u32_e64 v22, s[2:3], s26, v22
	v_lshlrev_b64 v[28:29], 2, v[28:29]
	v_addc_co_u32_e64 v23, s[2:3], v17, v23, s[2:3]
	v_ashrrev_i32_e32 v27, 31, v26
	v_add_co_u32_e64 v28, s[2:3], s26, v28
	v_lshlrev_b64 v[26:27], 2, v[26:27]
	v_addc_co_u32_e64 v29, s[2:3], v17, v29, s[2:3]
	v_ashrrev_i32_e32 v33, 31, v32
	v_add_co_u32_e64 v26, s[2:3], s26, v26
	v_lshlrev_b64 v[32:33], 2, v[32:33]
	v_addc_co_u32_e64 v27, s[2:3], v17, v27, s[2:3]
	v_ashrrev_i32_e32 v31, 31, v30
	global_load_dword v34, v[20:21], off
	global_load_dword v35, v[18:19], off
	v_add_co_u32_e64 v18, s[2:3], s26, v32
	v_lshlrev_b64 v[30:31], 2, v[30:31]
	v_addc_co_u32_e64 v19, s[2:3], v17, v33, s[2:3]
	v_add_co_u32_e64 v20, s[2:3], s26, v30
	v_addc_co_u32_e64 v21, s[2:3], v17, v31, s[2:3]
	global_load_dword v30, v[26:27], off
	global_load_dword v31, v[28:29], off
	;; [unrolled: 1-line block ×6, first 2 shown]
	s_andn2_b64 s[18:19], s[46:47], exec
	s_andn2_b64 s[44:45], s[44:45], exec
	;; [unrolled: 1-line block ×4, first 2 shown]
	s_add_i32 s56, s56, 4
	s_add_i32 s51, s51, 4
	s_add_i32 s57, s57, -4
	s_waitcnt vmcnt(7)
	v_cmp_gt_i32_e64 s[4:5], v8, v34
	s_waitcnt vmcnt(6)
	v_cmp_gt_i32_e64 s[2:3], v9, v35
	;; [unrolled: 2-line block ×4, first 2 shown]
	s_waitcnt vmcnt(3)
	v_cmp_ge_i32_e64 s[10:11], v9, v32
	s_waitcnt vmcnt(2)
	v_cmp_ge_i32_e64 s[12:13], v8, v33
	;; [unrolled: 2-line block ×4, first 2 shown]
	s_and_b64 s[4:5], s[4:5], s[12:13]
	s_and_b64 s[2:3], s[2:3], s[10:11]
	;; [unrolled: 1-line block ×8, first 2 shown]
	s_and_b64 s[2:3], s[38:39], exec
	s_and_b64 s[4:5], s[36:37], exec
	;; [unrolled: 1-line block ×4, first 2 shown]
	s_or_b64 s[46:47], s[18:19], s[2:3]
	s_or_b64 s[44:45], s[44:45], s[4:5]
	;; [unrolled: 1-line block ×4, first 2 shown]
	s_cmp_lg_u32 s57, 0
	s_cbranch_scc1 .LBB4_4
; %bb.5:
	s_and_b64 s[2:3], s[40:41], s[44:45]
	v_cndmask_b32_e64 v1, 0, 1, s[2:3]
	s_and_b64 s[2:3], s[42:43], s[46:47]
	v_lshlrev_b16_e32 v1, 1, v1
	v_cndmask_b32_e64 v3, 0, 1, s[2:3]
	s_or_b32 s9, s50, 1
	v_or_b32_e32 v1, v3, v1
	v_and_b32_e32 v1, 3, v1
	s_cmp_lg_u32 s50, s22
	v_cmp_eq_u16_e64 s[6:7], 3, v1
	s_cselect_b64 s[2:3], -1, 0
	s_and_b64 vcc, exec, s[2:3]
	s_cbranch_vccnz .LBB4_7
	s_branch .LBB4_13
.LBB4_6:
	s_cbranch_execz .LBB4_13
.LBB4_7:
	s_add_i32 s2, s49, s20
	v_add_u32_e32 v1, s2, v12
	s_add_i32 s49, s49, s9
	s_add_i32 s2, s48, s21
	;; [unrolled: 1-line block ×3, first 2 shown]
	s_sub_i32 s4, 0, s9
	s_not_b32 s5, s22
	v_add_u32_e32 v3, s49, v12
	s_sub_i32 s8, 0, s20
	v_add_u32_e32 v7, s2, v11
	v_add_u32_e32 v9, s48, v11
	s_sub_i32 s9, 0, s21
	v_mov_b32_e32 v14, s27
	v_mov_b32_e32 v15, v2
	s_branch .LBB4_9
.LBB4_8:                                ;   in Loop: Header=BB4_9 Depth=1
	v_ashrrev_i32_e32 v13, 31, v12
	v_lshlrev_b64 v[12:13], 2, v[12:13]
	v_add_co_u32_e32 v12, vcc, s26, v12
	v_ashrrev_i32_e32 v11, 31, v10
	v_addc_co_u32_e32 v13, vcc, v14, v13, vcc
	v_lshlrev_b64 v[10:11], 2, v[10:11]
	v_add_co_u32_e32 v10, vcc, s26, v10
	v_addc_co_u32_e32 v11, vcc, v14, v11, vcc
	global_load_dword v16, v[12:13], off
	global_load_dword v17, v[10:11], off
	s_add_i32 s5, s5, 1
	v_add_u32_e32 v15, -1, v15
	v_add_u32_e32 v1, -1, v1
	v_add_u32_e32 v3, 1, v3
	v_add_u32_e32 v0, -1, v0
	v_add_u32_e32 v7, -1, v7
	v_add_u32_e32 v9, 1, v9
	s_waitcnt vmcnt(1)
	v_cmp_gt_i32_e32 vcc, v8, v16
	s_waitcnt vmcnt(0)
	v_cmp_ge_i32_e64 s[2:3], v8, v17
	s_and_b64 s[2:3], vcc, s[2:3]
	s_and_b64 s[6:7], s[6:7], s[2:3]
	s_cmp_eq_u32 s4, s5
	s_cbranch_scc1 .LBB4_13
.LBB4_9:                                ; =>This Inner Loop Header: Depth=1
	s_and_b64 vcc, exec, s[28:29]
	s_cbranch_vccz .LBB4_11
; %bb.10:                               ;   in Loop: Header=BB4_9 Depth=1
	v_add_u32_e32 v11, s8, v3
	v_mov_b32_e32 v12, s23
	v_add_u32_e32 v10, s4, v15
	v_cndmask_b32_e64 v11, v11, v12, s[0:1]
	v_cmp_gt_i32_e32 vcc, s20, v3
	v_add_u32_e32 v12, s4, v1
	v_cndmask_b32_e32 v11, v11, v3, vcc
	v_cndmask_b32_e64 v12, v12, 0, s[0:1]
	v_cmp_gt_i32_e32 vcc, 0, v10
	v_cndmask_b32_e32 v10, v10, v12, vcc
	v_add_u32_e32 v12, v11, v6
	v_add_u32_e32 v10, v10, v6
	s_cbranch_execnz .LBB4_8
	s_branch .LBB4_12
.LBB4_11:                               ;   in Loop: Header=BB4_9 Depth=1
                                        ; implicit-def: $vgpr10
                                        ; implicit-def: $vgpr12
.LBB4_12:                               ;   in Loop: Header=BB4_9 Depth=1
	v_add_u32_e32 v11, s9, v9
	v_mov_b32_e32 v12, s33
	v_add_u32_e32 v10, s4, v0
	v_cndmask_b32_e64 v11, v11, v12, s[0:1]
	v_cmp_gt_i32_e32 vcc, s21, v9
	v_add_u32_e32 v12, s4, v7
	v_cndmask_b32_e32 v11, v11, v9, vcc
	v_cndmask_b32_e64 v12, v12, 0, s[0:1]
	v_cmp_gt_i32_e32 vcc, 0, v10
	v_cndmask_b32_e32 v10, v10, v12, vcc
	v_mad_u64_u32 v[12:13], s[2:3], v11, s20, v[2:3]
	v_mad_u64_u32 v[10:11], s[2:3], v10, s20, v[2:3]
	s_branch .LBB4_8
.LBB4_13:
	s_waitcnt lgkmcnt(0)
	v_mov_b32_e32 v1, s25
	v_add_co_u32_e32 v0, vcc, s24, v4
	v_addc_co_u32_e32 v1, vcc, v1, v5, vcc
	v_cndmask_b32_e64 v2, 0, 1, s[6:7]
	global_store_byte v[0:1], v2, off
.LBB4_14:
	s_endpgm
	.section	.rodata,"a",@progbits
	.p2align	6, 0x0
	.amdhsa_kernel _Z13relextrema_2DIiEviiibiPKT_Pb
		.amdhsa_group_segment_fixed_size 0
		.amdhsa_private_segment_fixed_size 0
		.amdhsa_kernarg_size 296
		.amdhsa_user_sgpr_count 6
		.amdhsa_user_sgpr_private_segment_buffer 1
		.amdhsa_user_sgpr_dispatch_ptr 0
		.amdhsa_user_sgpr_queue_ptr 0
		.amdhsa_user_sgpr_kernarg_segment_ptr 1
		.amdhsa_user_sgpr_dispatch_id 0
		.amdhsa_user_sgpr_flat_scratch_init 0
		.amdhsa_user_sgpr_kernarg_preload_length 0
		.amdhsa_user_sgpr_kernarg_preload_offset 0
		.amdhsa_user_sgpr_private_segment_size 0
		.amdhsa_uses_dynamic_stack 0
		.amdhsa_system_sgpr_private_segment_wavefront_offset 0
		.amdhsa_system_sgpr_workgroup_id_x 1
		.amdhsa_system_sgpr_workgroup_id_y 1
		.amdhsa_system_sgpr_workgroup_id_z 0
		.amdhsa_system_sgpr_workgroup_info 0
		.amdhsa_system_vgpr_workitem_id 1
		.amdhsa_next_free_vgpr 50
		.amdhsa_next_free_sgpr 58
		.amdhsa_accum_offset 52
		.amdhsa_reserve_vcc 1
		.amdhsa_reserve_flat_scratch 0
		.amdhsa_float_round_mode_32 0
		.amdhsa_float_round_mode_16_64 0
		.amdhsa_float_denorm_mode_32 3
		.amdhsa_float_denorm_mode_16_64 3
		.amdhsa_dx10_clamp 1
		.amdhsa_ieee_mode 1
		.amdhsa_fp16_overflow 0
		.amdhsa_tg_split 0
		.amdhsa_exception_fp_ieee_invalid_op 0
		.amdhsa_exception_fp_denorm_src 0
		.amdhsa_exception_fp_ieee_div_zero 0
		.amdhsa_exception_fp_ieee_overflow 0
		.amdhsa_exception_fp_ieee_underflow 0
		.amdhsa_exception_fp_ieee_inexact 0
		.amdhsa_exception_int_div_zero 0
	.end_amdhsa_kernel
	.section	.text._Z13relextrema_2DIiEviiibiPKT_Pb,"axG",@progbits,_Z13relextrema_2DIiEviiibiPKT_Pb,comdat
.Lfunc_end4:
	.size	_Z13relextrema_2DIiEviiibiPKT_Pb, .Lfunc_end4-_Z13relextrema_2DIiEviiibiPKT_Pb
                                        ; -- End function
	.section	.AMDGPU.csdata,"",@progbits
; Kernel info:
; codeLenInByte = 1872
; NumSgprs: 62
; NumVgprs: 50
; NumAgprs: 0
; TotalNumVgprs: 50
; ScratchSize: 0
; MemoryBound: 0
; FloatMode: 240
; IeeeMode: 1
; LDSByteSize: 0 bytes/workgroup (compile time only)
; SGPRBlocks: 7
; VGPRBlocks: 6
; NumSGPRsForWavesPerEU: 62
; NumVGPRsForWavesPerEU: 50
; AccumOffset: 52
; Occupancy: 8
; WaveLimiterHint : 0
; COMPUTE_PGM_RSRC2:SCRATCH_EN: 0
; COMPUTE_PGM_RSRC2:USER_SGPR: 6
; COMPUTE_PGM_RSRC2:TRAP_HANDLER: 0
; COMPUTE_PGM_RSRC2:TGID_X_EN: 1
; COMPUTE_PGM_RSRC2:TGID_Y_EN: 1
; COMPUTE_PGM_RSRC2:TGID_Z_EN: 0
; COMPUTE_PGM_RSRC2:TIDIG_COMP_CNT: 1
; COMPUTE_PGM_RSRC3_GFX90A:ACCUM_OFFSET: 12
; COMPUTE_PGM_RSRC3_GFX90A:TG_SPLIT: 0
	.section	.text._Z13relextrema_2DIlEviiibiPKT_Pb,"axG",@progbits,_Z13relextrema_2DIlEviiibiPKT_Pb,comdat
	.protected	_Z13relextrema_2DIlEviiibiPKT_Pb ; -- Begin function _Z13relextrema_2DIlEviiibiPKT_Pb
	.globl	_Z13relextrema_2DIlEviiibiPKT_Pb
	.p2align	8
	.type	_Z13relextrema_2DIlEviiibiPKT_Pb,@function
_Z13relextrema_2DIlEviiibiPKT_Pb:       ; @_Z13relextrema_2DIlEviiibiPKT_Pb
; %bb.0:
	s_load_dword s0, s[4:5], 0x34
	s_load_dwordx4 s[8:11], s[4:5], 0x0
	v_and_b32_e32 v1, 0x3ff, v0
	v_bfe_u32 v0, v0, 10, 10
	s_waitcnt lgkmcnt(0)
	s_lshr_b32 s1, s0, 16
	s_and_b32 s0, s0, 0xffff
	s_mul_i32 s6, s6, s0
	s_mul_i32 s7, s7, s1
	v_add_u32_e32 v2, s6, v1
	v_add_u32_e32 v3, s7, v0
	v_cmp_gt_i32_e32 vcc, s9, v3
	v_cmp_gt_i32_e64 s[0:1], s8, v2
	s_and_b64 s[0:1], vcc, s[0:1]
	s_and_saveexec_b64 s[2:3], s[0:1]
	s_cbranch_execz .LBB5_9
; %bb.1:
	s_load_dword s2, s[4:5], 0x10
	s_load_dwordx2 s[6:7], s[4:5], 0x20
	v_mul_lo_u32 v10, v3, s8
	v_add_u32_e32 v0, v10, v2
	v_ashrrev_i32_e32 v1, 31, v0
	s_mov_b64 s[12:13], -1
	s_cmp_lt_i32 s10, 1
	s_mov_b32 s16, 1
	s_cbranch_scc1 .LBB5_8
; %bb.2:
	s_load_dwordx2 s[4:5], s[4:5], 0x18
	v_lshlrev_b64 v[4:5], 3, v[0:1]
	s_bitcmp1_b32 s11, 0
	s_cselect_b64 s[0:1], -1, 0
	s_waitcnt lgkmcnt(0)
	s_cmp_lg_u32 s2, 0
	v_mov_b32_e32 v11, s5
	v_add_co_u32_e32 v4, vcc, s4, v4
	v_addc_co_u32_e32 v5, vcc, v11, v5, vcc
	global_load_dwordx2 v[4:5], v[4:5], off
	s_cselect_b64 s[14:15], -1, 0
	s_add_i32 s5, s8, -1
	s_add_i32 s11, s9, -1
	s_branch .LBB5_4
.LBB5_3:                                ;   in Loop: Header=BB5_4 Depth=1
	v_ashrrev_i32_e32 v9, 31, v8
	v_lshlrev_b64 v[8:9], 3, v[8:9]
	v_add_co_u32_e32 v8, vcc, s4, v8
	v_ashrrev_i32_e32 v7, 31, v6
	v_addc_co_u32_e32 v9, vcc, v11, v9, vcc
	v_lshlrev_b64 v[6:7], 3, v[6:7]
	v_add_co_u32_e32 v6, vcc, s4, v6
	v_addc_co_u32_e32 v7, vcc, v11, v7, vcc
	global_load_dwordx2 v[12:13], v[8:9], off
	global_load_dwordx2 v[14:15], v[6:7], off
	s_waitcnt vmcnt(1)
	v_cmp_gt_i64_e32 vcc, v[4:5], v[12:13]
	s_waitcnt vmcnt(0)
	v_cmp_ge_i64_e64 s[2:3], v[4:5], v[14:15]
	s_and_b64 s[2:3], vcc, s[2:3]
	s_and_b64 s[12:13], s[12:13], s[2:3]
	s_add_i32 s2, s16, 1
	s_cmp_eq_u32 s16, s10
	s_mov_b32 s16, s2
	s_cbranch_scc1 .LBB5_8
.LBB5_4:                                ; =>This Inner Loop Header: Depth=1
	s_and_b64 vcc, exec, s[14:15]
	s_cbranch_vccz .LBB5_6
; %bb.5:                                ;   in Loop: Header=BB5_4 Depth=1
	v_add_u32_e32 v6, s16, v2
	v_subrev_u32_e32 v8, s8, v6
	v_mov_b32_e32 v9, s5
	v_subrev_u32_e32 v7, s16, v2
	v_cndmask_b32_e64 v8, v8, v9, s[0:1]
	v_cmp_gt_i32_e32 vcc, s8, v6
	v_cndmask_b32_e32 v6, v8, v6, vcc
	v_add_u32_e32 v8, s8, v7
	v_cndmask_b32_e64 v8, v8, 0, s[0:1]
	v_cmp_gt_i32_e32 vcc, 0, v7
	v_cndmask_b32_e32 v7, v7, v8, vcc
	v_add_u32_e32 v8, v6, v10
	v_add_u32_e32 v6, v7, v10
	s_cbranch_execnz .LBB5_3
	s_branch .LBB5_7
.LBB5_6:                                ;   in Loop: Header=BB5_4 Depth=1
                                        ; implicit-def: $vgpr6
                                        ; implicit-def: $vgpr8
.LBB5_7:                                ;   in Loop: Header=BB5_4 Depth=1
	v_add_u32_e32 v6, s16, v3
	v_subrev_u32_e32 v8, s9, v6
	v_mov_b32_e32 v9, s11
	v_subrev_u32_e32 v7, s16, v3
	v_cndmask_b32_e64 v8, v8, v9, s[0:1]
	v_cmp_gt_i32_e32 vcc, s9, v6
	v_cndmask_b32_e32 v6, v8, v6, vcc
	v_add_u32_e32 v8, s9, v7
	v_cndmask_b32_e64 v8, v8, 0, s[0:1]
	v_cmp_gt_i32_e32 vcc, 0, v7
	v_cndmask_b32_e32 v7, v7, v8, vcc
	v_mad_u64_u32 v[8:9], s[2:3], v6, s8, v[2:3]
	v_mad_u64_u32 v[6:7], s[2:3], v7, s8, v[2:3]
	s_branch .LBB5_3
.LBB5_8:
	s_waitcnt lgkmcnt(0)
	v_mov_b32_e32 v2, s7
	v_add_co_u32_e32 v0, vcc, s6, v0
	v_addc_co_u32_e32 v1, vcc, v2, v1, vcc
	v_cndmask_b32_e64 v2, 0, 1, s[12:13]
	global_store_byte v[0:1], v2, off
.LBB5_9:
	s_endpgm
	.section	.rodata,"a",@progbits
	.p2align	6, 0x0
	.amdhsa_kernel _Z13relextrema_2DIlEviiibiPKT_Pb
		.amdhsa_group_segment_fixed_size 0
		.amdhsa_private_segment_fixed_size 0
		.amdhsa_kernarg_size 296
		.amdhsa_user_sgpr_count 6
		.amdhsa_user_sgpr_private_segment_buffer 1
		.amdhsa_user_sgpr_dispatch_ptr 0
		.amdhsa_user_sgpr_queue_ptr 0
		.amdhsa_user_sgpr_kernarg_segment_ptr 1
		.amdhsa_user_sgpr_dispatch_id 0
		.amdhsa_user_sgpr_flat_scratch_init 0
		.amdhsa_user_sgpr_kernarg_preload_length 0
		.amdhsa_user_sgpr_kernarg_preload_offset 0
		.amdhsa_user_sgpr_private_segment_size 0
		.amdhsa_uses_dynamic_stack 0
		.amdhsa_system_sgpr_private_segment_wavefront_offset 0
		.amdhsa_system_sgpr_workgroup_id_x 1
		.amdhsa_system_sgpr_workgroup_id_y 1
		.amdhsa_system_sgpr_workgroup_id_z 0
		.amdhsa_system_sgpr_workgroup_info 0
		.amdhsa_system_vgpr_workitem_id 1
		.amdhsa_next_free_vgpr 16
		.amdhsa_next_free_sgpr 17
		.amdhsa_accum_offset 16
		.amdhsa_reserve_vcc 1
		.amdhsa_reserve_flat_scratch 0
		.amdhsa_float_round_mode_32 0
		.amdhsa_float_round_mode_16_64 0
		.amdhsa_float_denorm_mode_32 3
		.amdhsa_float_denorm_mode_16_64 3
		.amdhsa_dx10_clamp 1
		.amdhsa_ieee_mode 1
		.amdhsa_fp16_overflow 0
		.amdhsa_tg_split 0
		.amdhsa_exception_fp_ieee_invalid_op 0
		.amdhsa_exception_fp_denorm_src 0
		.amdhsa_exception_fp_ieee_div_zero 0
		.amdhsa_exception_fp_ieee_overflow 0
		.amdhsa_exception_fp_ieee_underflow 0
		.amdhsa_exception_fp_ieee_inexact 0
		.amdhsa_exception_int_div_zero 0
	.end_amdhsa_kernel
	.section	.text._Z13relextrema_2DIlEviiibiPKT_Pb,"axG",@progbits,_Z13relextrema_2DIlEviiibiPKT_Pb,comdat
.Lfunc_end5:
	.size	_Z13relextrema_2DIlEviiibiPKT_Pb, .Lfunc_end5-_Z13relextrema_2DIlEviiibiPKT_Pb
                                        ; -- End function
	.section	.AMDGPU.csdata,"",@progbits
; Kernel info:
; codeLenInByte = 488
; NumSgprs: 21
; NumVgprs: 16
; NumAgprs: 0
; TotalNumVgprs: 16
; ScratchSize: 0
; MemoryBound: 0
; FloatMode: 240
; IeeeMode: 1
; LDSByteSize: 0 bytes/workgroup (compile time only)
; SGPRBlocks: 2
; VGPRBlocks: 1
; NumSGPRsForWavesPerEU: 21
; NumVGPRsForWavesPerEU: 16
; AccumOffset: 16
; Occupancy: 8
; WaveLimiterHint : 0
; COMPUTE_PGM_RSRC2:SCRATCH_EN: 0
; COMPUTE_PGM_RSRC2:USER_SGPR: 6
; COMPUTE_PGM_RSRC2:TRAP_HANDLER: 0
; COMPUTE_PGM_RSRC2:TGID_X_EN: 1
; COMPUTE_PGM_RSRC2:TGID_Y_EN: 1
; COMPUTE_PGM_RSRC2:TGID_Z_EN: 0
; COMPUTE_PGM_RSRC2:TIDIG_COMP_CNT: 1
; COMPUTE_PGM_RSRC3_GFX90A:ACCUM_OFFSET: 3
; COMPUTE_PGM_RSRC3_GFX90A:TG_SPLIT: 0
	.section	.text._Z13relextrema_2DIfEviiibiPKT_Pb,"axG",@progbits,_Z13relextrema_2DIfEviiibiPKT_Pb,comdat
	.protected	_Z13relextrema_2DIfEviiibiPKT_Pb ; -- Begin function _Z13relextrema_2DIfEviiibiPKT_Pb
	.globl	_Z13relextrema_2DIfEviiibiPKT_Pb
	.p2align	8
	.type	_Z13relextrema_2DIfEviiibiPKT_Pb,@function
_Z13relextrema_2DIfEviiibiPKT_Pb:       ; @_Z13relextrema_2DIfEviiibiPKT_Pb
; %bb.0:
	s_load_dword s0, s[4:5], 0x34
	s_load_dwordx4 s[20:23], s[4:5], 0x0
	v_and_b32_e32 v12, 0x3ff, v0
	v_bfe_u32 v11, v0, 10, 10
	s_waitcnt lgkmcnt(0)
	s_lshr_b32 s1, s0, 16
	s_and_b32 s0, s0, 0xffff
	s_mul_i32 s49, s6, s0
	s_mul_i32 s48, s7, s1
	v_add_u32_e32 v2, s49, v12
	v_add_u32_e32 v0, s48, v11
	v_cmp_gt_i32_e32 vcc, s21, v0
	v_cmp_gt_i32_e64 s[0:1], s20, v2
	s_and_b64 s[0:1], vcc, s[0:1]
	s_and_saveexec_b64 s[2:3], s[0:1]
	s_cbranch_execz .LBB6_14
; %bb.1:
	s_load_dword s2, s[4:5], 0x10
	s_load_dwordx2 s[24:25], s[4:5], 0x20
	v_mul_lo_u32 v6, v0, s20
	v_add_u32_e32 v4, v6, v2
	v_ashrrev_i32_e32 v5, 31, v4
	s_mov_b64 s[6:7], -1
	s_cmp_lt_i32 s22, 1
	s_mov_b32 s9, 1
	s_cbranch_scc1 .LBB6_13
; %bb.2:
	s_load_dwordx2 s[26:27], s[4:5], 0x18
	v_lshlrev_b64 v[8:9], 2, v[4:5]
	s_bitcmp1_b32 s23, 0
	s_cselect_b64 s[0:1], -1, 0
	s_waitcnt lgkmcnt(0)
	s_cmp_eq_u32 s2, 0
	v_mov_b32_e32 v1, s27
	v_add_co_u32_e32 v8, vcc, s26, v8
	v_addc_co_u32_e32 v9, vcc, v1, v9, vcc
	global_load_dword v8, v[8:9], off
	s_cselect_b64 vcc, -1, 0
	s_cmp_lg_u32 s2, 0
	s_cselect_b64 s[28:29], -1, 0
	s_add_i32 s23, s20, -1
	s_add_i32 s33, s21, -1
	s_cmp_gt_u32 s22, 3
	s_mov_b32 s51, 2
	s_cbranch_scc0 .LBB6_6
; %bb.3:
	s_and_b32 s50, s22, 0x7ffffffc
	v_mov_b32_e32 v3, v2
	s_mov_b32 s52, s20
	s_mov_b32 s53, s20
	v_mov_b32_e32 v1, v6
	v_mov_b32_e32 v7, v0
	s_mov_b32 s54, s21
	s_mov_b32 s55, s21
	s_waitcnt vmcnt(0)
	v_mov_b32_e32 v9, v8
	s_mov_b64 s[30:31], -1
	s_mov_b64 s[34:35], -1
	s_mov_b32 s56, 1
	v_mov_b32_e32 v13, s23
	v_mov_b32_e32 v14, s23
	;; [unrolled: 1-line block ×6, first 2 shown]
	s_mov_b64 s[36:37], -1
	s_mov_b64 s[38:39], -1
	s_mov_b32 s57, s50
                                        ; implicit-def: $sgpr40_sgpr41
                                        ; implicit-def: $sgpr42_sgpr43
                                        ; implicit-def: $sgpr44_sgpr45
                                        ; implicit-def: $sgpr46_sgpr47
.LBB6_4:                                ; =>This Inner Loop Header: Depth=1
	s_add_i32 s2, s51, 2
	s_add_i32 s3, s56, 2
	v_add_u32_e32 v18, s56, v2
	v_add_u32_e32 v19, s51, v3
	v_subrev_u32_e32 v20, s56, v2
	v_subrev_u32_e32 v21, s51, v3
	v_add_u32_e32 v22, s56, v0
	v_add_u32_e32 v23, s51, v7
	v_subrev_u32_e32 v24, s56, v0
	v_subrev_u32_e32 v25, s51, v7
	;; [unrolled: 4-line block ×3, first 2 shown]
	v_subrev_u32_e32 v30, s52, v18
	v_subrev_u32_e32 v31, s53, v19
	v_add_u32_e32 v32, s52, v20
	v_add_u32_e32 v33, s53, v21
	;; [unrolled: 1-line block ×3, first 2 shown]
	v_subrev_u32_e32 v38, s54, v22
	v_subrev_u32_e32 v39, s55, v23
	v_add_u32_e32 v40, s54, v24
	v_add_u32_e32 v41, s55, v25
	;; [unrolled: 1-line block ×3, first 2 shown]
	v_subrev_u32_e32 v36, s3, v0
	v_subrev_u32_e32 v37, s2, v7
	v_cndmask_b32_e64 v31, v31, v13, s[0:1]
	v_cmp_gt_i32_e64 s[2:3], s53, v19
	v_subrev_u32_e32 v42, s52, v26
	v_subrev_u32_e32 v43, s53, v27
	v_cndmask_b32_e64 v30, v30, v14, s[0:1]
	v_cndmask_b32_e64 v33, v33, 0, s[0:1]
	v_cmp_gt_i32_e64 s[4:5], 0, v21
	v_cndmask_b32_e64 v32, v32, 0, s[0:1]
	v_cmp_gt_i32_e64 s[6:7], 0, v20
	v_add_u32_e32 v44, s52, v28
	v_add_u32_e32 v45, s53, v29
	v_cndmask_b32_e64 v39, v39, v15, s[0:1]
	v_cmp_gt_i32_e64 s[8:9], s55, v23
	v_cndmask_b32_e64 v38, v38, v16, s[0:1]
	v_cmp_gt_i32_e64 s[10:11], s54, v22
	v_subrev_u32_e32 v46, s54, v34
	v_cndmask_b32_e64 v41, v41, 0, s[0:1]
	v_cmp_gt_i32_e64 s[12:13], 0, v25
	v_cndmask_b32_e64 v40, v40, 0, s[0:1]
	v_cmp_gt_i32_e64 s[14:15], 0, v24
	v_cmp_gt_i32_e64 s[16:17], s52, v18
	v_cndmask_b32_e64 v43, v43, v13, s[0:1]
	v_cmp_gt_i32_e64 s[18:19], s53, v27
	v_cndmask_b32_e64 v42, v42, v14, s[0:1]
	v_cndmask_b32_e64 v18, v30, v18, s[16:17]
	;; [unrolled: 1-line block ×4, first 2 shown]
	v_cmp_gt_i32_e64 s[2:3], 0, v29
	v_cndmask_b32_e64 v31, v44, 0, s[0:1]
	v_cmp_gt_i32_e64 s[16:17], 0, v28
	v_cndmask_b32_e64 v20, v20, v32, s[6:7]
	v_cndmask_b32_e64 v21, v21, v33, s[4:5]
	;; [unrolled: 1-line block ×3, first 2 shown]
	v_cmp_gt_i32_e64 s[6:7], s54, v34
	v_cndmask_b32_e64 v22, v38, v22, s[10:11]
	v_cndmask_b32_e64 v23, v39, v23, s[8:9]
	;; [unrolled: 1-line block ×4, first 2 shown]
	v_cmp_gt_i32_e64 s[12:13], s52, v26
	v_subrev_u32_e32 v47, s55, v35
	v_add_u32_e32 v48, s54, v36
	v_add_u32_e32 v49, s55, v37
	v_cndmask_b32_e64 v26, v42, v26, s[12:13]
	v_cndmask_b32_e64 v27, v43, v27, s[18:19]
	;; [unrolled: 1-line block ×4, first 2 shown]
	v_add_u32_e32 v40, v19, v1
	v_add_u32_e32 v41, v18, v6
	;; [unrolled: 1-line block ×4, first 2 shown]
	v_cndmask_b32_e64 v30, v33, v34, s[6:7]
	v_mad_u64_u32 v[18:19], s[2:3], v23, s53, v[10:11]
	v_mad_u64_u32 v[20:21], s[2:3], v22, s52, v[2:3]
	v_mad_u64_u32 v[22:23], s[2:3], v25, s53, v[10:11]
	v_mad_u64_u32 v[24:25], s[2:3], v24, s52, v[2:3]
	v_cndmask_b32_e64 v32, v47, v15, s[0:1]
	v_cmp_gt_i32_e64 s[4:5], s55, v35
	v_cndmask_b32_e64 v38, v49, 0, s[0:1]
	v_cmp_gt_i32_e64 s[8:9], 0, v37
	;; [unrolled: 2-line block ×3, first 2 shown]
	v_add_u32_e32 v21, v26, v6
	v_add_u32_e32 v23, v29, v1
	v_add_u32_e32 v25, v28, v6
	v_mad_u64_u32 v[28:29], s[2:3], v30, s52, v[2:3]
	v_cndmask_b32_e32 v20, v41, v20, vcc
	v_cndmask_b32_e64 v31, v32, v35, s[4:5]
	v_cndmask_b32_e64 v32, v36, v39, s[10:11]
	;; [unrolled: 1-line block ×3, first 2 shown]
	v_cndmask_b32_e32 v28, v21, v28, vcc
	v_ashrrev_i32_e32 v21, 31, v20
	v_add_u32_e32 v19, v27, v1
	v_mad_u64_u32 v[26:27], s[2:3], v31, s53, v[10:11]
	v_mad_u64_u32 v[30:31], s[2:3], v33, s53, v[10:11]
	;; [unrolled: 1-line block ×3, first 2 shown]
	v_cndmask_b32_e32 v18, v40, v18, vcc
	v_lshlrev_b64 v[20:21], 2, v[20:21]
	v_cndmask_b32_e32 v26, v19, v26, vcc
	v_ashrrev_i32_e32 v19, 31, v18
	v_add_co_u32_e64 v20, s[2:3], s26, v20
	v_cndmask_b32_e32 v24, v43, v24, vcc
	v_lshlrev_b64 v[18:19], 2, v[18:19]
	v_addc_co_u32_e64 v21, s[2:3], v17, v21, s[2:3]
	v_cndmask_b32_e32 v32, v25, v32, vcc
	v_ashrrev_i32_e32 v25, 31, v24
	v_add_co_u32_e64 v18, s[2:3], s26, v18
	v_cndmask_b32_e32 v22, v42, v22, vcc
	v_lshlrev_b64 v[24:25], 2, v[24:25]
	v_addc_co_u32_e64 v19, s[2:3], v17, v19, s[2:3]
	v_cndmask_b32_e32 v30, v23, v30, vcc
	v_ashrrev_i32_e32 v23, 31, v22
	v_add_co_u32_e64 v24, s[2:3], s26, v24
	v_lshlrev_b64 v[22:23], 2, v[22:23]
	v_addc_co_u32_e64 v25, s[2:3], v17, v25, s[2:3]
	v_ashrrev_i32_e32 v29, 31, v28
	v_add_co_u32_e64 v22, s[2:3], s26, v22
	v_lshlrev_b64 v[28:29], 2, v[28:29]
	v_addc_co_u32_e64 v23, s[2:3], v17, v23, s[2:3]
	;; [unrolled: 4-line block ×4, first 2 shown]
	v_ashrrev_i32_e32 v31, 31, v30
	global_load_dword v34, v[20:21], off
	global_load_dword v35, v[18:19], off
	v_add_co_u32_e64 v18, s[2:3], s26, v32
	v_lshlrev_b64 v[30:31], 2, v[30:31]
	v_addc_co_u32_e64 v19, s[2:3], v17, v33, s[2:3]
	v_add_co_u32_e64 v20, s[2:3], s26, v30
	v_addc_co_u32_e64 v21, s[2:3], v17, v31, s[2:3]
	global_load_dword v30, v[26:27], off
	global_load_dword v31, v[28:29], off
	global_load_dword v32, v[22:23], off
	global_load_dword v33, v[24:25], off
	global_load_dword v36, v[20:21], off
	global_load_dword v37, v[18:19], off
	s_andn2_b64 s[18:19], s[46:47], exec
	s_andn2_b64 s[44:45], s[44:45], exec
	;; [unrolled: 1-line block ×4, first 2 shown]
	s_add_i32 s56, s56, 4
	s_add_i32 s51, s51, 4
	s_add_i32 s57, s57, -4
	s_waitcnt vmcnt(7)
	v_cmp_gt_f32_e64 s[4:5], v8, v34
	s_waitcnt vmcnt(6)
	v_cmp_gt_f32_e64 s[2:3], v9, v35
	;; [unrolled: 2-line block ×4, first 2 shown]
	s_waitcnt vmcnt(3)
	v_cmp_ge_f32_e64 s[10:11], v9, v32
	s_waitcnt vmcnt(2)
	v_cmp_ge_f32_e64 s[12:13], v8, v33
	s_waitcnt vmcnt(1)
	v_cmp_ge_f32_e64 s[14:15], v9, v36
	s_waitcnt vmcnt(0)
	v_cmp_ge_f32_e64 s[16:17], v8, v37
	s_and_b64 s[4:5], s[4:5], s[12:13]
	s_and_b64 s[2:3], s[2:3], s[10:11]
	;; [unrolled: 1-line block ×8, first 2 shown]
	s_and_b64 s[2:3], s[38:39], exec
	s_and_b64 s[4:5], s[36:37], exec
	;; [unrolled: 1-line block ×4, first 2 shown]
	s_or_b64 s[46:47], s[18:19], s[2:3]
	s_or_b64 s[44:45], s[44:45], s[4:5]
	;; [unrolled: 1-line block ×4, first 2 shown]
	s_cmp_lg_u32 s57, 0
	s_cbranch_scc1 .LBB6_4
; %bb.5:
	s_and_b64 s[2:3], s[40:41], s[44:45]
	v_cndmask_b32_e64 v1, 0, 1, s[2:3]
	s_and_b64 s[2:3], s[42:43], s[46:47]
	v_lshlrev_b16_e32 v1, 1, v1
	v_cndmask_b32_e64 v3, 0, 1, s[2:3]
	s_or_b32 s9, s50, 1
	v_or_b32_e32 v1, v3, v1
	v_and_b32_e32 v1, 3, v1
	s_cmp_lg_u32 s50, s22
	v_cmp_eq_u16_e64 s[6:7], 3, v1
	s_cselect_b64 s[2:3], -1, 0
	s_and_b64 vcc, exec, s[2:3]
	s_cbranch_vccnz .LBB6_7
	s_branch .LBB6_13
.LBB6_6:
	s_cbranch_execz .LBB6_13
.LBB6_7:
	s_add_i32 s2, s49, s20
	v_add_u32_e32 v1, s2, v12
	s_add_i32 s49, s49, s9
	s_add_i32 s2, s48, s21
	;; [unrolled: 1-line block ×3, first 2 shown]
	s_sub_i32 s4, 0, s9
	s_not_b32 s5, s22
	v_add_u32_e32 v3, s49, v12
	s_sub_i32 s8, 0, s20
	v_add_u32_e32 v7, s2, v11
	v_add_u32_e32 v9, s48, v11
	s_sub_i32 s9, 0, s21
	v_mov_b32_e32 v14, s27
	v_mov_b32_e32 v15, v2
	s_branch .LBB6_9
.LBB6_8:                                ;   in Loop: Header=BB6_9 Depth=1
	v_ashrrev_i32_e32 v13, 31, v12
	v_lshlrev_b64 v[12:13], 2, v[12:13]
	v_add_co_u32_e32 v12, vcc, s26, v12
	v_ashrrev_i32_e32 v11, 31, v10
	v_addc_co_u32_e32 v13, vcc, v14, v13, vcc
	v_lshlrev_b64 v[10:11], 2, v[10:11]
	v_add_co_u32_e32 v10, vcc, s26, v10
	v_addc_co_u32_e32 v11, vcc, v14, v11, vcc
	global_load_dword v16, v[12:13], off
	global_load_dword v17, v[10:11], off
	s_add_i32 s5, s5, 1
	v_add_u32_e32 v15, -1, v15
	v_add_u32_e32 v1, -1, v1
	v_add_u32_e32 v3, 1, v3
	v_add_u32_e32 v0, -1, v0
	v_add_u32_e32 v7, -1, v7
	v_add_u32_e32 v9, 1, v9
	s_waitcnt vmcnt(1)
	v_cmp_gt_f32_e32 vcc, v8, v16
	s_waitcnt vmcnt(0)
	v_cmp_ge_f32_e64 s[2:3], v8, v17
	s_and_b64 s[2:3], vcc, s[2:3]
	s_and_b64 s[6:7], s[6:7], s[2:3]
	s_cmp_eq_u32 s4, s5
	s_cbranch_scc1 .LBB6_13
.LBB6_9:                                ; =>This Inner Loop Header: Depth=1
	s_and_b64 vcc, exec, s[28:29]
	s_cbranch_vccz .LBB6_11
; %bb.10:                               ;   in Loop: Header=BB6_9 Depth=1
	v_add_u32_e32 v11, s8, v3
	v_mov_b32_e32 v12, s23
	v_add_u32_e32 v10, s4, v15
	v_cndmask_b32_e64 v11, v11, v12, s[0:1]
	v_cmp_gt_i32_e32 vcc, s20, v3
	v_add_u32_e32 v12, s4, v1
	v_cndmask_b32_e32 v11, v11, v3, vcc
	v_cndmask_b32_e64 v12, v12, 0, s[0:1]
	v_cmp_gt_i32_e32 vcc, 0, v10
	v_cndmask_b32_e32 v10, v10, v12, vcc
	v_add_u32_e32 v12, v11, v6
	v_add_u32_e32 v10, v10, v6
	s_cbranch_execnz .LBB6_8
	s_branch .LBB6_12
.LBB6_11:                               ;   in Loop: Header=BB6_9 Depth=1
                                        ; implicit-def: $vgpr10
                                        ; implicit-def: $vgpr12
.LBB6_12:                               ;   in Loop: Header=BB6_9 Depth=1
	v_add_u32_e32 v11, s9, v9
	v_mov_b32_e32 v12, s33
	v_add_u32_e32 v10, s4, v0
	v_cndmask_b32_e64 v11, v11, v12, s[0:1]
	v_cmp_gt_i32_e32 vcc, s21, v9
	v_add_u32_e32 v12, s4, v7
	v_cndmask_b32_e32 v11, v11, v9, vcc
	v_cndmask_b32_e64 v12, v12, 0, s[0:1]
	v_cmp_gt_i32_e32 vcc, 0, v10
	v_cndmask_b32_e32 v10, v10, v12, vcc
	v_mad_u64_u32 v[12:13], s[2:3], v11, s20, v[2:3]
	v_mad_u64_u32 v[10:11], s[2:3], v10, s20, v[2:3]
	s_branch .LBB6_8
.LBB6_13:
	s_waitcnt lgkmcnt(0)
	v_mov_b32_e32 v1, s25
	v_add_co_u32_e32 v0, vcc, s24, v4
	v_addc_co_u32_e32 v1, vcc, v1, v5, vcc
	v_cndmask_b32_e64 v2, 0, 1, s[6:7]
	global_store_byte v[0:1], v2, off
.LBB6_14:
	s_endpgm
	.section	.rodata,"a",@progbits
	.p2align	6, 0x0
	.amdhsa_kernel _Z13relextrema_2DIfEviiibiPKT_Pb
		.amdhsa_group_segment_fixed_size 0
		.amdhsa_private_segment_fixed_size 0
		.amdhsa_kernarg_size 296
		.amdhsa_user_sgpr_count 6
		.amdhsa_user_sgpr_private_segment_buffer 1
		.amdhsa_user_sgpr_dispatch_ptr 0
		.amdhsa_user_sgpr_queue_ptr 0
		.amdhsa_user_sgpr_kernarg_segment_ptr 1
		.amdhsa_user_sgpr_dispatch_id 0
		.amdhsa_user_sgpr_flat_scratch_init 0
		.amdhsa_user_sgpr_kernarg_preload_length 0
		.amdhsa_user_sgpr_kernarg_preload_offset 0
		.amdhsa_user_sgpr_private_segment_size 0
		.amdhsa_uses_dynamic_stack 0
		.amdhsa_system_sgpr_private_segment_wavefront_offset 0
		.amdhsa_system_sgpr_workgroup_id_x 1
		.amdhsa_system_sgpr_workgroup_id_y 1
		.amdhsa_system_sgpr_workgroup_id_z 0
		.amdhsa_system_sgpr_workgroup_info 0
		.amdhsa_system_vgpr_workitem_id 1
		.amdhsa_next_free_vgpr 50
		.amdhsa_next_free_sgpr 58
		.amdhsa_accum_offset 52
		.amdhsa_reserve_vcc 1
		.amdhsa_reserve_flat_scratch 0
		.amdhsa_float_round_mode_32 0
		.amdhsa_float_round_mode_16_64 0
		.amdhsa_float_denorm_mode_32 3
		.amdhsa_float_denorm_mode_16_64 3
		.amdhsa_dx10_clamp 1
		.amdhsa_ieee_mode 1
		.amdhsa_fp16_overflow 0
		.amdhsa_tg_split 0
		.amdhsa_exception_fp_ieee_invalid_op 0
		.amdhsa_exception_fp_denorm_src 0
		.amdhsa_exception_fp_ieee_div_zero 0
		.amdhsa_exception_fp_ieee_overflow 0
		.amdhsa_exception_fp_ieee_underflow 0
		.amdhsa_exception_fp_ieee_inexact 0
		.amdhsa_exception_int_div_zero 0
	.end_amdhsa_kernel
	.section	.text._Z13relextrema_2DIfEviiibiPKT_Pb,"axG",@progbits,_Z13relextrema_2DIfEviiibiPKT_Pb,comdat
.Lfunc_end6:
	.size	_Z13relextrema_2DIfEviiibiPKT_Pb, .Lfunc_end6-_Z13relextrema_2DIfEviiibiPKT_Pb
                                        ; -- End function
	.section	.AMDGPU.csdata,"",@progbits
; Kernel info:
; codeLenInByte = 1872
; NumSgprs: 62
; NumVgprs: 50
; NumAgprs: 0
; TotalNumVgprs: 50
; ScratchSize: 0
; MemoryBound: 0
; FloatMode: 240
; IeeeMode: 1
; LDSByteSize: 0 bytes/workgroup (compile time only)
; SGPRBlocks: 7
; VGPRBlocks: 6
; NumSGPRsForWavesPerEU: 62
; NumVGPRsForWavesPerEU: 50
; AccumOffset: 52
; Occupancy: 8
; WaveLimiterHint : 0
; COMPUTE_PGM_RSRC2:SCRATCH_EN: 0
; COMPUTE_PGM_RSRC2:USER_SGPR: 6
; COMPUTE_PGM_RSRC2:TRAP_HANDLER: 0
; COMPUTE_PGM_RSRC2:TGID_X_EN: 1
; COMPUTE_PGM_RSRC2:TGID_Y_EN: 1
; COMPUTE_PGM_RSRC2:TGID_Z_EN: 0
; COMPUTE_PGM_RSRC2:TIDIG_COMP_CNT: 1
; COMPUTE_PGM_RSRC3_GFX90A:ACCUM_OFFSET: 12
; COMPUTE_PGM_RSRC3_GFX90A:TG_SPLIT: 0
	.section	.text._Z13relextrema_2DIdEviiibiPKT_Pb,"axG",@progbits,_Z13relextrema_2DIdEviiibiPKT_Pb,comdat
	.protected	_Z13relextrema_2DIdEviiibiPKT_Pb ; -- Begin function _Z13relextrema_2DIdEviiibiPKT_Pb
	.globl	_Z13relextrema_2DIdEviiibiPKT_Pb
	.p2align	8
	.type	_Z13relextrema_2DIdEviiibiPKT_Pb,@function
_Z13relextrema_2DIdEviiibiPKT_Pb:       ; @_Z13relextrema_2DIdEviiibiPKT_Pb
; %bb.0:
	s_load_dword s0, s[4:5], 0x34
	s_load_dwordx4 s[8:11], s[4:5], 0x0
	v_and_b32_e32 v1, 0x3ff, v0
	v_bfe_u32 v0, v0, 10, 10
	s_waitcnt lgkmcnt(0)
	s_lshr_b32 s1, s0, 16
	s_and_b32 s0, s0, 0xffff
	s_mul_i32 s6, s6, s0
	s_mul_i32 s7, s7, s1
	v_add_u32_e32 v2, s6, v1
	v_add_u32_e32 v3, s7, v0
	v_cmp_gt_i32_e32 vcc, s9, v3
	v_cmp_gt_i32_e64 s[0:1], s8, v2
	s_and_b64 s[0:1], vcc, s[0:1]
	s_and_saveexec_b64 s[2:3], s[0:1]
	s_cbranch_execz .LBB7_9
; %bb.1:
	s_load_dword s2, s[4:5], 0x10
	s_load_dwordx2 s[6:7], s[4:5], 0x20
	v_mul_lo_u32 v10, v3, s8
	v_add_u32_e32 v0, v10, v2
	v_ashrrev_i32_e32 v1, 31, v0
	s_mov_b64 s[12:13], -1
	s_cmp_lt_i32 s10, 1
	s_mov_b32 s16, 1
	s_cbranch_scc1 .LBB7_8
; %bb.2:
	s_load_dwordx2 s[4:5], s[4:5], 0x18
	v_lshlrev_b64 v[4:5], 3, v[0:1]
	s_bitcmp1_b32 s11, 0
	s_cselect_b64 s[0:1], -1, 0
	s_waitcnt lgkmcnt(0)
	s_cmp_lg_u32 s2, 0
	v_mov_b32_e32 v11, s5
	v_add_co_u32_e32 v4, vcc, s4, v4
	v_addc_co_u32_e32 v5, vcc, v11, v5, vcc
	global_load_dwordx2 v[4:5], v[4:5], off
	s_cselect_b64 s[14:15], -1, 0
	s_add_i32 s5, s8, -1
	s_add_i32 s11, s9, -1
	s_branch .LBB7_4
.LBB7_3:                                ;   in Loop: Header=BB7_4 Depth=1
	v_ashrrev_i32_e32 v9, 31, v8
	v_lshlrev_b64 v[8:9], 3, v[8:9]
	v_add_co_u32_e32 v8, vcc, s4, v8
	v_ashrrev_i32_e32 v7, 31, v6
	v_addc_co_u32_e32 v9, vcc, v11, v9, vcc
	v_lshlrev_b64 v[6:7], 3, v[6:7]
	v_add_co_u32_e32 v6, vcc, s4, v6
	v_addc_co_u32_e32 v7, vcc, v11, v7, vcc
	global_load_dwordx2 v[12:13], v[8:9], off
	global_load_dwordx2 v[14:15], v[6:7], off
	s_waitcnt vmcnt(1)
	v_cmp_gt_f64_e32 vcc, v[4:5], v[12:13]
	s_waitcnt vmcnt(0)
	v_cmp_ge_f64_e64 s[2:3], v[4:5], v[14:15]
	s_and_b64 s[2:3], vcc, s[2:3]
	s_and_b64 s[12:13], s[12:13], s[2:3]
	s_add_i32 s2, s16, 1
	s_cmp_eq_u32 s16, s10
	s_mov_b32 s16, s2
	s_cbranch_scc1 .LBB7_8
.LBB7_4:                                ; =>This Inner Loop Header: Depth=1
	s_and_b64 vcc, exec, s[14:15]
	s_cbranch_vccz .LBB7_6
; %bb.5:                                ;   in Loop: Header=BB7_4 Depth=1
	v_add_u32_e32 v6, s16, v2
	v_subrev_u32_e32 v8, s8, v6
	v_mov_b32_e32 v9, s5
	v_subrev_u32_e32 v7, s16, v2
	v_cndmask_b32_e64 v8, v8, v9, s[0:1]
	v_cmp_gt_i32_e32 vcc, s8, v6
	v_cndmask_b32_e32 v6, v8, v6, vcc
	v_add_u32_e32 v8, s8, v7
	v_cndmask_b32_e64 v8, v8, 0, s[0:1]
	v_cmp_gt_i32_e32 vcc, 0, v7
	v_cndmask_b32_e32 v7, v7, v8, vcc
	v_add_u32_e32 v8, v6, v10
	v_add_u32_e32 v6, v7, v10
	s_cbranch_execnz .LBB7_3
	s_branch .LBB7_7
.LBB7_6:                                ;   in Loop: Header=BB7_4 Depth=1
                                        ; implicit-def: $vgpr6
                                        ; implicit-def: $vgpr8
.LBB7_7:                                ;   in Loop: Header=BB7_4 Depth=1
	v_add_u32_e32 v6, s16, v3
	v_subrev_u32_e32 v8, s9, v6
	v_mov_b32_e32 v9, s11
	v_subrev_u32_e32 v7, s16, v3
	v_cndmask_b32_e64 v8, v8, v9, s[0:1]
	v_cmp_gt_i32_e32 vcc, s9, v6
	v_cndmask_b32_e32 v6, v8, v6, vcc
	v_add_u32_e32 v8, s9, v7
	v_cndmask_b32_e64 v8, v8, 0, s[0:1]
	v_cmp_gt_i32_e32 vcc, 0, v7
	v_cndmask_b32_e32 v7, v7, v8, vcc
	v_mad_u64_u32 v[8:9], s[2:3], v6, s8, v[2:3]
	v_mad_u64_u32 v[6:7], s[2:3], v7, s8, v[2:3]
	s_branch .LBB7_3
.LBB7_8:
	s_waitcnt lgkmcnt(0)
	v_mov_b32_e32 v2, s7
	v_add_co_u32_e32 v0, vcc, s6, v0
	v_addc_co_u32_e32 v1, vcc, v2, v1, vcc
	v_cndmask_b32_e64 v2, 0, 1, s[12:13]
	global_store_byte v[0:1], v2, off
.LBB7_9:
	s_endpgm
	.section	.rodata,"a",@progbits
	.p2align	6, 0x0
	.amdhsa_kernel _Z13relextrema_2DIdEviiibiPKT_Pb
		.amdhsa_group_segment_fixed_size 0
		.amdhsa_private_segment_fixed_size 0
		.amdhsa_kernarg_size 296
		.amdhsa_user_sgpr_count 6
		.amdhsa_user_sgpr_private_segment_buffer 1
		.amdhsa_user_sgpr_dispatch_ptr 0
		.amdhsa_user_sgpr_queue_ptr 0
		.amdhsa_user_sgpr_kernarg_segment_ptr 1
		.amdhsa_user_sgpr_dispatch_id 0
		.amdhsa_user_sgpr_flat_scratch_init 0
		.amdhsa_user_sgpr_kernarg_preload_length 0
		.amdhsa_user_sgpr_kernarg_preload_offset 0
		.amdhsa_user_sgpr_private_segment_size 0
		.amdhsa_uses_dynamic_stack 0
		.amdhsa_system_sgpr_private_segment_wavefront_offset 0
		.amdhsa_system_sgpr_workgroup_id_x 1
		.amdhsa_system_sgpr_workgroup_id_y 1
		.amdhsa_system_sgpr_workgroup_id_z 0
		.amdhsa_system_sgpr_workgroup_info 0
		.amdhsa_system_vgpr_workitem_id 1
		.amdhsa_next_free_vgpr 16
		.amdhsa_next_free_sgpr 17
		.amdhsa_accum_offset 16
		.amdhsa_reserve_vcc 1
		.amdhsa_reserve_flat_scratch 0
		.amdhsa_float_round_mode_32 0
		.amdhsa_float_round_mode_16_64 0
		.amdhsa_float_denorm_mode_32 3
		.amdhsa_float_denorm_mode_16_64 3
		.amdhsa_dx10_clamp 1
		.amdhsa_ieee_mode 1
		.amdhsa_fp16_overflow 0
		.amdhsa_tg_split 0
		.amdhsa_exception_fp_ieee_invalid_op 0
		.amdhsa_exception_fp_denorm_src 0
		.amdhsa_exception_fp_ieee_div_zero 0
		.amdhsa_exception_fp_ieee_overflow 0
		.amdhsa_exception_fp_ieee_underflow 0
		.amdhsa_exception_fp_ieee_inexact 0
		.amdhsa_exception_int_div_zero 0
	.end_amdhsa_kernel
	.section	.text._Z13relextrema_2DIdEviiibiPKT_Pb,"axG",@progbits,_Z13relextrema_2DIdEviiibiPKT_Pb,comdat
.Lfunc_end7:
	.size	_Z13relextrema_2DIdEviiibiPKT_Pb, .Lfunc_end7-_Z13relextrema_2DIdEviiibiPKT_Pb
                                        ; -- End function
	.section	.AMDGPU.csdata,"",@progbits
; Kernel info:
; codeLenInByte = 488
; NumSgprs: 21
; NumVgprs: 16
; NumAgprs: 0
; TotalNumVgprs: 16
; ScratchSize: 0
; MemoryBound: 0
; FloatMode: 240
; IeeeMode: 1
; LDSByteSize: 0 bytes/workgroup (compile time only)
; SGPRBlocks: 2
; VGPRBlocks: 1
; NumSGPRsForWavesPerEU: 21
; NumVGPRsForWavesPerEU: 16
; AccumOffset: 16
; Occupancy: 8
; WaveLimiterHint : 0
; COMPUTE_PGM_RSRC2:SCRATCH_EN: 0
; COMPUTE_PGM_RSRC2:USER_SGPR: 6
; COMPUTE_PGM_RSRC2:TRAP_HANDLER: 0
; COMPUTE_PGM_RSRC2:TGID_X_EN: 1
; COMPUTE_PGM_RSRC2:TGID_Y_EN: 1
; COMPUTE_PGM_RSRC2:TGID_Z_EN: 0
; COMPUTE_PGM_RSRC2:TIDIG_COMP_CNT: 1
; COMPUTE_PGM_RSRC3_GFX90A:ACCUM_OFFSET: 3
; COMPUTE_PGM_RSRC3_GFX90A:TG_SPLIT: 0
	.text
	.p2alignl 6, 3212836864
	.fill 256, 4, 3212836864
	.type	__hip_cuid_168745bc6b0c417c,@object ; @__hip_cuid_168745bc6b0c417c
	.section	.bss,"aw",@nobits
	.globl	__hip_cuid_168745bc6b0c417c
__hip_cuid_168745bc6b0c417c:
	.byte	0                               ; 0x0
	.size	__hip_cuid_168745bc6b0c417c, 1

	.ident	"AMD clang version 19.0.0git (https://github.com/RadeonOpenCompute/llvm-project roc-6.4.0 25133 c7fe45cf4b819c5991fe208aaa96edf142730f1d)"
	.section	".note.GNU-stack","",@progbits
	.addrsig
	.addrsig_sym __hip_cuid_168745bc6b0c417c
	.amdgpu_metadata
---
amdhsa.kernels:
  - .agpr_count:     0
    .args:
      - .offset:         0
        .size:           4
        .value_kind:     by_value
      - .offset:         4
        .size:           4
        .value_kind:     by_value
      - .offset:         8
        .size:           1
        .value_kind:     by_value
      - .actual_access:  read_only
        .address_space:  global
        .offset:         16
        .size:           8
        .value_kind:     global_buffer
      - .actual_access:  write_only
        .address_space:  global
        .offset:         24
        .size:           8
        .value_kind:     global_buffer
      - .offset:         32
        .size:           4
        .value_kind:     hidden_block_count_x
      - .offset:         36
        .size:           4
        .value_kind:     hidden_block_count_y
      - .offset:         40
        .size:           4
        .value_kind:     hidden_block_count_z
      - .offset:         44
        .size:           2
        .value_kind:     hidden_group_size_x
      - .offset:         46
        .size:           2
        .value_kind:     hidden_group_size_y
      - .offset:         48
        .size:           2
        .value_kind:     hidden_group_size_z
      - .offset:         50
        .size:           2
        .value_kind:     hidden_remainder_x
      - .offset:         52
        .size:           2
        .value_kind:     hidden_remainder_y
      - .offset:         54
        .size:           2
        .value_kind:     hidden_remainder_z
      - .offset:         72
        .size:           8
        .value_kind:     hidden_global_offset_x
      - .offset:         80
        .size:           8
        .value_kind:     hidden_global_offset_y
      - .offset:         88
        .size:           8
        .value_kind:     hidden_global_offset_z
      - .offset:         96
        .size:           2
        .value_kind:     hidden_grid_dims
    .group_segment_fixed_size: 0
    .kernarg_segment_align: 8
    .kernarg_segment_size: 288
    .language:       OpenCL C
    .language_version:
      - 2
      - 0
    .max_flat_workgroup_size: 1024
    .name:           _Z13relextrema_1DIiEviibPKT_Pb
    .private_segment_fixed_size: 0
    .sgpr_count:     45
    .sgpr_spill_count: 0
    .symbol:         _Z13relextrema_1DIiEviibPKT_Pb.kd
    .uniform_work_group_size: 1
    .uses_dynamic_stack: false
    .vgpr_count:     24
    .vgpr_spill_count: 0
    .wavefront_size: 64
  - .agpr_count:     0
    .args:
      - .offset:         0
        .size:           4
        .value_kind:     by_value
      - .offset:         4
        .size:           4
        .value_kind:     by_value
      - .offset:         8
        .size:           1
        .value_kind:     by_value
      - .actual_access:  read_only
        .address_space:  global
        .offset:         16
        .size:           8
        .value_kind:     global_buffer
      - .actual_access:  write_only
        .address_space:  global
        .offset:         24
        .size:           8
        .value_kind:     global_buffer
      - .offset:         32
        .size:           4
        .value_kind:     hidden_block_count_x
      - .offset:         36
        .size:           4
        .value_kind:     hidden_block_count_y
      - .offset:         40
        .size:           4
        .value_kind:     hidden_block_count_z
      - .offset:         44
        .size:           2
        .value_kind:     hidden_group_size_x
      - .offset:         46
        .size:           2
        .value_kind:     hidden_group_size_y
      - .offset:         48
        .size:           2
        .value_kind:     hidden_group_size_z
      - .offset:         50
        .size:           2
        .value_kind:     hidden_remainder_x
      - .offset:         52
        .size:           2
        .value_kind:     hidden_remainder_y
      - .offset:         54
        .size:           2
        .value_kind:     hidden_remainder_z
      - .offset:         72
        .size:           8
        .value_kind:     hidden_global_offset_x
      - .offset:         80
        .size:           8
        .value_kind:     hidden_global_offset_y
      - .offset:         88
        .size:           8
        .value_kind:     hidden_global_offset_z
      - .offset:         96
        .size:           2
        .value_kind:     hidden_grid_dims
    .group_segment_fixed_size: 0
    .kernarg_segment_align: 8
    .kernarg_segment_size: 288
    .language:       OpenCL C
    .language_version:
      - 2
      - 0
    .max_flat_workgroup_size: 1024
    .name:           _Z13relextrema_1DIlEviibPKT_Pb
    .private_segment_fixed_size: 0
    .sgpr_count:     25
    .sgpr_spill_count: 0
    .symbol:         _Z13relextrema_1DIlEviibPKT_Pb.kd
    .uniform_work_group_size: 1
    .uses_dynamic_stack: false
    .vgpr_count:     22
    .vgpr_spill_count: 0
    .wavefront_size: 64
  - .agpr_count:     0
    .args:
      - .offset:         0
        .size:           4
        .value_kind:     by_value
      - .offset:         4
        .size:           4
        .value_kind:     by_value
      - .offset:         8
        .size:           1
        .value_kind:     by_value
      - .actual_access:  read_only
        .address_space:  global
        .offset:         16
        .size:           8
        .value_kind:     global_buffer
      - .actual_access:  write_only
        .address_space:  global
        .offset:         24
        .size:           8
        .value_kind:     global_buffer
      - .offset:         32
        .size:           4
        .value_kind:     hidden_block_count_x
      - .offset:         36
        .size:           4
        .value_kind:     hidden_block_count_y
      - .offset:         40
        .size:           4
        .value_kind:     hidden_block_count_z
      - .offset:         44
        .size:           2
        .value_kind:     hidden_group_size_x
      - .offset:         46
        .size:           2
        .value_kind:     hidden_group_size_y
      - .offset:         48
        .size:           2
        .value_kind:     hidden_group_size_z
      - .offset:         50
        .size:           2
        .value_kind:     hidden_remainder_x
      - .offset:         52
        .size:           2
        .value_kind:     hidden_remainder_y
      - .offset:         54
        .size:           2
        .value_kind:     hidden_remainder_z
      - .offset:         72
        .size:           8
        .value_kind:     hidden_global_offset_x
      - .offset:         80
        .size:           8
        .value_kind:     hidden_global_offset_y
      - .offset:         88
        .size:           8
        .value_kind:     hidden_global_offset_z
      - .offset:         96
        .size:           2
        .value_kind:     hidden_grid_dims
    .group_segment_fixed_size: 0
    .kernarg_segment_align: 8
    .kernarg_segment_size: 288
    .language:       OpenCL C
    .language_version:
      - 2
      - 0
    .max_flat_workgroup_size: 1024
    .name:           _Z13relextrema_1DIfEviibPKT_Pb
    .private_segment_fixed_size: 0
    .sgpr_count:     45
    .sgpr_spill_count: 0
    .symbol:         _Z13relextrema_1DIfEviibPKT_Pb.kd
    .uniform_work_group_size: 1
    .uses_dynamic_stack: false
    .vgpr_count:     24
    .vgpr_spill_count: 0
    .wavefront_size: 64
  - .agpr_count:     0
    .args:
      - .offset:         0
        .size:           4
        .value_kind:     by_value
      - .offset:         4
        .size:           4
        .value_kind:     by_value
      - .offset:         8
        .size:           1
        .value_kind:     by_value
      - .actual_access:  read_only
        .address_space:  global
        .offset:         16
        .size:           8
        .value_kind:     global_buffer
      - .actual_access:  write_only
        .address_space:  global
        .offset:         24
        .size:           8
        .value_kind:     global_buffer
      - .offset:         32
        .size:           4
        .value_kind:     hidden_block_count_x
      - .offset:         36
        .size:           4
        .value_kind:     hidden_block_count_y
      - .offset:         40
        .size:           4
        .value_kind:     hidden_block_count_z
      - .offset:         44
        .size:           2
        .value_kind:     hidden_group_size_x
      - .offset:         46
        .size:           2
        .value_kind:     hidden_group_size_y
      - .offset:         48
        .size:           2
        .value_kind:     hidden_group_size_z
      - .offset:         50
        .size:           2
        .value_kind:     hidden_remainder_x
      - .offset:         52
        .size:           2
        .value_kind:     hidden_remainder_y
      - .offset:         54
        .size:           2
        .value_kind:     hidden_remainder_z
      - .offset:         72
        .size:           8
        .value_kind:     hidden_global_offset_x
      - .offset:         80
        .size:           8
        .value_kind:     hidden_global_offset_y
      - .offset:         88
        .size:           8
        .value_kind:     hidden_global_offset_z
      - .offset:         96
        .size:           2
        .value_kind:     hidden_grid_dims
    .group_segment_fixed_size: 0
    .kernarg_segment_align: 8
    .kernarg_segment_size: 288
    .language:       OpenCL C
    .language_version:
      - 2
      - 0
    .max_flat_workgroup_size: 1024
    .name:           _Z13relextrema_1DIdEviibPKT_Pb
    .private_segment_fixed_size: 0
    .sgpr_count:     25
    .sgpr_spill_count: 0
    .symbol:         _Z13relextrema_1DIdEviibPKT_Pb.kd
    .uniform_work_group_size: 1
    .uses_dynamic_stack: false
    .vgpr_count:     22
    .vgpr_spill_count: 0
    .wavefront_size: 64
  - .agpr_count:     0
    .args:
      - .offset:         0
        .size:           4
        .value_kind:     by_value
      - .offset:         4
        .size:           4
        .value_kind:     by_value
      - .offset:         8
        .size:           4
        .value_kind:     by_value
      - .offset:         12
        .size:           1
        .value_kind:     by_value
      - .offset:         16
        .size:           4
        .value_kind:     by_value
      - .actual_access:  read_only
        .address_space:  global
        .offset:         24
        .size:           8
        .value_kind:     global_buffer
      - .actual_access:  write_only
        .address_space:  global
        .offset:         32
        .size:           8
        .value_kind:     global_buffer
      - .offset:         40
        .size:           4
        .value_kind:     hidden_block_count_x
      - .offset:         44
        .size:           4
        .value_kind:     hidden_block_count_y
      - .offset:         48
        .size:           4
        .value_kind:     hidden_block_count_z
      - .offset:         52
        .size:           2
        .value_kind:     hidden_group_size_x
      - .offset:         54
        .size:           2
        .value_kind:     hidden_group_size_y
      - .offset:         56
        .size:           2
        .value_kind:     hidden_group_size_z
      - .offset:         58
        .size:           2
        .value_kind:     hidden_remainder_x
      - .offset:         60
        .size:           2
        .value_kind:     hidden_remainder_y
      - .offset:         62
        .size:           2
        .value_kind:     hidden_remainder_z
      - .offset:         80
        .size:           8
        .value_kind:     hidden_global_offset_x
      - .offset:         88
        .size:           8
        .value_kind:     hidden_global_offset_y
      - .offset:         96
        .size:           8
        .value_kind:     hidden_global_offset_z
      - .offset:         104
        .size:           2
        .value_kind:     hidden_grid_dims
    .group_segment_fixed_size: 0
    .kernarg_segment_align: 8
    .kernarg_segment_size: 296
    .language:       OpenCL C
    .language_version:
      - 2
      - 0
    .max_flat_workgroup_size: 1024
    .name:           _Z13relextrema_2DIiEviiibiPKT_Pb
    .private_segment_fixed_size: 0
    .sgpr_count:     62
    .sgpr_spill_count: 0
    .symbol:         _Z13relextrema_2DIiEviiibiPKT_Pb.kd
    .uniform_work_group_size: 1
    .uses_dynamic_stack: false
    .vgpr_count:     50
    .vgpr_spill_count: 0
    .wavefront_size: 64
  - .agpr_count:     0
    .args:
      - .offset:         0
        .size:           4
        .value_kind:     by_value
      - .offset:         4
        .size:           4
        .value_kind:     by_value
      - .offset:         8
        .size:           4
        .value_kind:     by_value
      - .offset:         12
        .size:           1
        .value_kind:     by_value
      - .offset:         16
        .size:           4
        .value_kind:     by_value
      - .actual_access:  read_only
        .address_space:  global
        .offset:         24
        .size:           8
        .value_kind:     global_buffer
      - .actual_access:  write_only
        .address_space:  global
        .offset:         32
        .size:           8
        .value_kind:     global_buffer
      - .offset:         40
        .size:           4
        .value_kind:     hidden_block_count_x
      - .offset:         44
        .size:           4
        .value_kind:     hidden_block_count_y
      - .offset:         48
        .size:           4
        .value_kind:     hidden_block_count_z
      - .offset:         52
        .size:           2
        .value_kind:     hidden_group_size_x
      - .offset:         54
        .size:           2
        .value_kind:     hidden_group_size_y
      - .offset:         56
        .size:           2
        .value_kind:     hidden_group_size_z
      - .offset:         58
        .size:           2
        .value_kind:     hidden_remainder_x
      - .offset:         60
        .size:           2
        .value_kind:     hidden_remainder_y
      - .offset:         62
        .size:           2
        .value_kind:     hidden_remainder_z
      - .offset:         80
        .size:           8
        .value_kind:     hidden_global_offset_x
      - .offset:         88
        .size:           8
        .value_kind:     hidden_global_offset_y
      - .offset:         96
        .size:           8
        .value_kind:     hidden_global_offset_z
      - .offset:         104
        .size:           2
        .value_kind:     hidden_grid_dims
    .group_segment_fixed_size: 0
    .kernarg_segment_align: 8
    .kernarg_segment_size: 296
    .language:       OpenCL C
    .language_version:
      - 2
      - 0
    .max_flat_workgroup_size: 1024
    .name:           _Z13relextrema_2DIlEviiibiPKT_Pb
    .private_segment_fixed_size: 0
    .sgpr_count:     21
    .sgpr_spill_count: 0
    .symbol:         _Z13relextrema_2DIlEviiibiPKT_Pb.kd
    .uniform_work_group_size: 1
    .uses_dynamic_stack: false
    .vgpr_count:     16
    .vgpr_spill_count: 0
    .wavefront_size: 64
  - .agpr_count:     0
    .args:
      - .offset:         0
        .size:           4
        .value_kind:     by_value
      - .offset:         4
        .size:           4
        .value_kind:     by_value
      - .offset:         8
        .size:           4
        .value_kind:     by_value
      - .offset:         12
        .size:           1
        .value_kind:     by_value
      - .offset:         16
        .size:           4
        .value_kind:     by_value
      - .actual_access:  read_only
        .address_space:  global
        .offset:         24
        .size:           8
        .value_kind:     global_buffer
      - .actual_access:  write_only
        .address_space:  global
        .offset:         32
        .size:           8
        .value_kind:     global_buffer
      - .offset:         40
        .size:           4
        .value_kind:     hidden_block_count_x
      - .offset:         44
        .size:           4
        .value_kind:     hidden_block_count_y
      - .offset:         48
        .size:           4
        .value_kind:     hidden_block_count_z
      - .offset:         52
        .size:           2
        .value_kind:     hidden_group_size_x
      - .offset:         54
        .size:           2
        .value_kind:     hidden_group_size_y
      - .offset:         56
        .size:           2
        .value_kind:     hidden_group_size_z
      - .offset:         58
        .size:           2
        .value_kind:     hidden_remainder_x
      - .offset:         60
        .size:           2
        .value_kind:     hidden_remainder_y
      - .offset:         62
        .size:           2
        .value_kind:     hidden_remainder_z
      - .offset:         80
        .size:           8
        .value_kind:     hidden_global_offset_x
      - .offset:         88
        .size:           8
        .value_kind:     hidden_global_offset_y
      - .offset:         96
        .size:           8
        .value_kind:     hidden_global_offset_z
      - .offset:         104
        .size:           2
        .value_kind:     hidden_grid_dims
    .group_segment_fixed_size: 0
    .kernarg_segment_align: 8
    .kernarg_segment_size: 296
    .language:       OpenCL C
    .language_version:
      - 2
      - 0
    .max_flat_workgroup_size: 1024
    .name:           _Z13relextrema_2DIfEviiibiPKT_Pb
    .private_segment_fixed_size: 0
    .sgpr_count:     62
    .sgpr_spill_count: 0
    .symbol:         _Z13relextrema_2DIfEviiibiPKT_Pb.kd
    .uniform_work_group_size: 1
    .uses_dynamic_stack: false
    .vgpr_count:     50
    .vgpr_spill_count: 0
    .wavefront_size: 64
  - .agpr_count:     0
    .args:
      - .offset:         0
        .size:           4
        .value_kind:     by_value
      - .offset:         4
        .size:           4
        .value_kind:     by_value
      - .offset:         8
        .size:           4
        .value_kind:     by_value
      - .offset:         12
        .size:           1
        .value_kind:     by_value
      - .offset:         16
        .size:           4
        .value_kind:     by_value
      - .actual_access:  read_only
        .address_space:  global
        .offset:         24
        .size:           8
        .value_kind:     global_buffer
      - .actual_access:  write_only
        .address_space:  global
        .offset:         32
        .size:           8
        .value_kind:     global_buffer
      - .offset:         40
        .size:           4
        .value_kind:     hidden_block_count_x
      - .offset:         44
        .size:           4
        .value_kind:     hidden_block_count_y
      - .offset:         48
        .size:           4
        .value_kind:     hidden_block_count_z
      - .offset:         52
        .size:           2
        .value_kind:     hidden_group_size_x
      - .offset:         54
        .size:           2
        .value_kind:     hidden_group_size_y
      - .offset:         56
        .size:           2
        .value_kind:     hidden_group_size_z
      - .offset:         58
        .size:           2
        .value_kind:     hidden_remainder_x
      - .offset:         60
        .size:           2
        .value_kind:     hidden_remainder_y
      - .offset:         62
        .size:           2
        .value_kind:     hidden_remainder_z
      - .offset:         80
        .size:           8
        .value_kind:     hidden_global_offset_x
      - .offset:         88
        .size:           8
        .value_kind:     hidden_global_offset_y
      - .offset:         96
        .size:           8
        .value_kind:     hidden_global_offset_z
      - .offset:         104
        .size:           2
        .value_kind:     hidden_grid_dims
    .group_segment_fixed_size: 0
    .kernarg_segment_align: 8
    .kernarg_segment_size: 296
    .language:       OpenCL C
    .language_version:
      - 2
      - 0
    .max_flat_workgroup_size: 1024
    .name:           _Z13relextrema_2DIdEviiibiPKT_Pb
    .private_segment_fixed_size: 0
    .sgpr_count:     21
    .sgpr_spill_count: 0
    .symbol:         _Z13relextrema_2DIdEviiibiPKT_Pb.kd
    .uniform_work_group_size: 1
    .uses_dynamic_stack: false
    .vgpr_count:     16
    .vgpr_spill_count: 0
    .wavefront_size: 64
amdhsa.target:   amdgcn-amd-amdhsa--gfx90a
amdhsa.version:
  - 1
  - 2
...

	.end_amdgpu_metadata
